;; amdgpu-corpus repo=ROCm/aiter kind=harvested arch=n/a opt=n/a

/root/src/amdgpu-assembly/repos/ROCm__aiter/hsa/gfx942/fmoe_2stages/fmoe_stage1_bf16_pertokenFp8_doweight_g1u1_160x64_pf3.co:	file format elf64-amdgpu

Disassembly of section .text:

0000000000002a00 <_ZN5aiter53fmoe_stage1_bf16_pertokenFp8_doweight_g1u1_160x64_pf3E>:
	s_and_b32 s1, s1, 0xffff                                   // 000000002A00: 8601FF01 0000FFFF
	s_load_dwordx2 s[8:9], s[0:1], 0x0                         // 000000002A08: C0060200 00000000
	s_load_dwordx2 s[20:21], s[0:1], 0x10                      // 000000002A10: C0060500 00000010
	s_load_dwordx2 s[24:25], s[0:1], 0x20                      // 000000002A18: C0060600 00000020
	s_load_dwordx2 s[48:49], s[0:1], 0x30                      // 000000002A20: C0060C00 00000030
	s_load_dwordx2 s[28:29], s[0:1], 0x40                      // 000000002A28: C0060700 00000040
	s_load_dwordx2 s[32:33], s[0:1], 0x50                      // 000000002A30: C0060800 00000050
	s_load_dwordx2 s[36:37], s[0:1], 0x60                      // 000000002A38: C0060900 00000060
	s_load_dwordx2 s[12:13], s[0:1], 0x70                      // 000000002A40: C0060300 00000070
	s_load_dwordx2 s[44:45], s[0:1], 0x80                      // 000000002A48: C0060B00 00000080
	s_mov_b32 s89, 0                                           // 000000002A50: BED90080
	s_load_dword s64, s[0:1], 0x90                             // 000000002A54: C0021000 00000090
	s_load_dword s65, s[0:1], 0xa0                             // 000000002A5C: C0021040 000000A0
	s_load_dword s66, s[0:1], 0xb0                             // 000000002A64: C0021080 000000B0
	s_load_dword s67, s[0:1], 0xc0                             // 000000002A6C: C00210C0 000000C0
	s_load_dword s68, s[0:1], 0xd0                             // 000000002A74: C0021100 000000D0
	s_load_dword s69, s[0:1], 0xe0                             // 000000002A7C: C0021140 000000E0
	s_load_dword s71, s[0:1], 0xf0                             // 000000002A84: C00211C0 000000F0
	s_load_dword s72, s[0:1], 0x100                            // 000000002A8C: C0021200 00000100
	s_load_dword s74, s[0:1], 0x110                            // 000000002A94: C0021280 00000110
	s_load_dword s76, s[0:1], 0x120                            // 000000002A9C: C0021300 00000120
	s_load_dword s56, s[0:1], 0x130                            // 000000002AA4: C0020E00 00000130
	s_load_dword s88, s[0:1], 0x140                            // 000000002AAC: C0021600 00000140
	s_load_dword s89, s[0:1], 0x150                            // 000000002AB4: C0021640 00000150
	s_load_dwordx2 s[40:41], s[0:1], 0x160                     // 000000002ABC: C0060A00 00000160
	v_lshrrev_b32_e32 v1, 10, v0                               // 000000002AC4: 2002008A
	v_lshrrev_b32_e32 v2, 10, v1                               // 000000002AC8: 2004028A
	v_and_b32_e32 v2, 0x3ff, v2                                // 000000002ACC: 260404FF 000003FF
	v_and_b32_e32 v1, 0x3ff, v1                                // 000000002AD4: 260202FF 000003FF
	v_and_b32_e32 v0, 0x3ff, v0                                // 000000002ADC: 260000FF 000003FF
	v_lshrrev_b32_e32 v3, 6, v0                                // 000000002AE4: 20060086
	v_and_b32_e32 v0, 63, v0                                   // 000000002AE8: 260000BF
	s_mov_b32 s2, s2                                           // 000000002AEC: BE820002
	s_mov_b32 s3, s3                                           // 000000002AF0: BE830003
	s_mov_b32 s4, s4                                           // 000000002AF4: BE840004
	v_readfirstlane_b32 s7, v3                                 // 000000002AF8: 7E0E0503
	s_waitcnt lgkmcnt(0)                                       // 000000002AFC: BF8CC07F
	s_and_b32 s49, s49, 0xffff                                 // 000000002B00: 8631FF31 0000FFFF
	s_load_dword s48, s[48:49], 0x0                            // 000000002B08: C0020C18 00000000
	s_and_b32 s45, s45, 0xffff                                 // 000000002B10: 862DFF2D 0000FFFF
	s_and_b32 s9, s9, 0xffff                                   // 000000002B18: 8609FF09 0000FFFF
	s_mul_i32 s60, s66, s68                                    // 000000002B20: 923C4442
	s_mul_i32 s61, s66, 4                                      // 000000002B24: 923D8442
	s_mov_b32 s22, s60                                         // 000000002B28: BE96003C
	s_mov_b32 s26, -16                                         // 000000002B2C: BE9A00D0
	s_mov_b32 s30, s61                                         // 000000002B30: BE9E003D
	s_mov_b32 s14, 0x280                                       // 000000002B34: BE8E00FF 00000280
	s_mov_b32 s38, -16                                         // 000000002B3C: BEA600D0
	s_mov_b32 s10, -16                                         // 000000002B40: BE8A00D0
	s_mov_b32 s34, 0x100                                       // 000000002B44: BEA200FF 00000100
	s_mov_b32 s23, 0x20000                                     // 000000002B4C: BE9700FF 00020000
	s_mov_b32 s27, 0x20000                                     // 000000002B54: BE9B00FF 00020000
	s_mov_b32 s31, 0x20000                                     // 000000002B5C: BE9F00FF 00020000
	s_mov_b32 s35, 0x20000                                     // 000000002B64: BEA300FF 00020000
	s_mov_b32 s15, 0x20000                                     // 000000002B6C: BE8F00FF 00020000
	s_mov_b32 s39, 0x20000                                     // 000000002B74: BEA700FF 00020000
	s_mov_b32 s11, 0x20000                                     // 000000002B7C: BE8B00FF 00020000
	s_and_b32 s21, s21, 0xffff                                 // 000000002B84: 8615FF15 0000FFFF
	s_and_b32 s25, s25, 0xffff                                 // 000000002B8C: 8619FF19 0000FFFF
	s_and_b32 s29, s29, 0xffff                                 // 000000002B94: 861DFF1D 0000FFFF
	s_and_b32 s33, s33, 0xffff                                 // 000000002B9C: 8621FF21 0000FFFF
	s_and_b32 s13, s13, 0xffff                                 // 000000002BA4: 860DFF0D 0000FFFF
	s_and_b32 s37, s37, 0xffff                                 // 000000002BAC: 8625FF25 0000FFFF
	s_or_b32 s21, s21, 0x40000                                 // 000000002BB4: 8715FF15 00040000
	s_or_b32 s25, s25, 0x40000                                 // 000000002BBC: 8719FF19 00040000
	s_or_b32 s29, s29, 0x40000                                 // 000000002BC4: 871DFF1D 00040000
	s_or_b32 s33, s33, 0x40000                                 // 000000002BCC: 8721FF21 00040000
	s_or_b32 s13, s13, 0x40000                                 // 000000002BD4: 870DFF0D 00040000
	s_or_b32 s37, s37, 0x40000                                 // 000000002BDC: 8725FF25 00040000
	s_mov_b32 s42, -16                                         // 000000002BE4: BEAA00D0
	s_mov_b32 s43, 0x20000                                     // 000000002BE8: BEAB00FF 00020000
	s_and_b32 s41, s41, 0xffff                                 // 000000002BF0: 8629FF29 0000FFFF
	s_or_b32 s41, s41, 0x40000                                 // 000000002BF8: 8729FF29 00040000
	v_accvgpr_write_b32 a183, 0                                // 000000002C00: D3D940B7 18000080
	v_mov_b32_e32 v181, 0                                      // 000000002C08: 7F6A0280
	s_waitcnt lgkmcnt(0)                                       // 000000002C0C: BF8CC07F
	s_mul_i32 s60, s3, 0xa0                                    // 000000002C10: 923CFF03 000000A0
	s_cmp_lt_i32 s60, s48                                      // 000000002C18: BF04303C
	s_cbranch_scc0 label_3463                                  // 000000002C1C: BF8433D8
	s_mov_b32 s80, 0                                           // 000000002C20: BED00080
	s_lshr_b32 s81, s64, s88                                   // 000000002C24: 8F515840
	s_mul_i32 s60, s3, 4                                       // 000000002C28: 923C8403
	s_add_u32 s44, s60, s44                                    // 000000002C2C: 802C2C3C
	s_addc_u32 s45, 0, s45                                     // 000000002C30: 822D2D80
	s_load_dword s5, s[44:45], 0x0                             // 000000002C34: C0020156 00000000
	s_mul_i32 s60, s3, 0xa0                                    // 000000002C3C: 923CFF03 000000A0
	s_mul_i32 s60, 4, s60                                      // 000000002C44: 923C3C84
	s_add_u32 s12, s60, s12                                    // 000000002C48: 800C0C3C
	s_addc_u32 s13, 0, s13                                     // 000000002C4C: 820D0D80
	v_and_b32_e32 v4, 15, v0                                   // 000000002C50: 2608008F
	v_lshlrev_b32_e32 v4, 2, v4                                // 000000002C54: 24080882
	buffer_load_dword v30, v4, s[12:15], 0 offen               // 000000002C58: E0501000 80031E04
	v_add_u32_e32 v4, 64, v4                                   // 000000002C60: 680808C0
	buffer_load_dword v31, v4, s[12:15], 0 offen               // 000000002C64: E0501000 80031F04
	v_add_u32_e32 v4, 64, v4                                   // 000000002C6C: 680808C0
	buffer_load_dword v32, v4, s[12:15], 0 offen               // 000000002C70: E0501000 80032004
	v_add_u32_e32 v4, 64, v4                                   // 000000002C78: 680808C0
	buffer_load_dword v33, v4, s[12:15], 0 offen               // 000000002C7C: E0501000 80032104
	v_add_u32_e32 v4, 64, v4                                   // 000000002C84: 680808C0
	buffer_load_dword v34, v4, s[12:15], 0 offen               // 000000002C88: E0501000 80032204
	v_add_u32_e32 v4, 64, v4                                   // 000000002C90: 680808C0
	buffer_load_dword v35, v4, s[12:15], 0 offen               // 000000002C94: E0501000 80032304
	v_add_u32_e32 v4, 64, v4                                   // 000000002C9C: 680808C0
	buffer_load_dword v36, v4, s[12:15], 0 offen               // 000000002CA0: E0501000 80032404
	v_add_u32_e32 v4, 64, v4                                   // 000000002CA8: 680808C0
	buffer_load_dword v37, v4, s[12:15], 0 offen               // 000000002CAC: E0501000 80032504
	v_add_u32_e32 v4, 64, v4                                   // 000000002CB4: 680808C0
	buffer_load_dword v38, v4, s[12:15], 0 offen               // 000000002CB8: E0501000 80032604
	v_add_u32_e32 v4, 64, v4                                   // 000000002CC0: 680808C0
	buffer_load_dword v39, v4, s[12:15], 0 offen               // 000000002CC4: E0501000 80032704
	v_add_u32_e32 v4, 64, v4                                   // 000000002CCC: 680808C0
	s_mul_i32 s60, 4, s7                                       // 000000002CD0: 923C0784
	v_lshlrev_b32_e32 v4, 4, v0                                // 000000002CD4: 24080084
	v_add_u32_e32 v4, s60, v4                                  // 000000002CD8: 6808083C
	buffer_load_dword v3, v4, s[12:15], 0 offen                // 000000002CDC: E0501000 80030304
	v_mov_b32_e32 v92, 0                                       // 000000002CE4: 7EB80280
	v_mov_b32_e32 v132, 0                                      // 000000002CE8: 7F080280
	v_mov_b32_e32 v93, 0                                       // 000000002CEC: 7EBA0280
	v_mov_b32_e32 v133, 0                                      // 000000002CF0: 7F0A0280
	v_mov_b32_e32 v94, 0                                       // 000000002CF4: 7EBC0280
	v_mov_b32_e32 v134, 0                                      // 000000002CF8: 7F0C0280
	v_mov_b32_e32 v95, 0                                       // 000000002CFC: 7EBE0280
	v_mov_b32_e32 v135, 0                                      // 000000002D00: 7F0E0280
	v_mov_b32_e32 v96, 0                                       // 000000002D04: 7EC00280
	v_mov_b32_e32 v136, 0                                      // 000000002D08: 7F100280
	v_mov_b32_e32 v97, 0                                       // 000000002D0C: 7EC20280
	v_mov_b32_e32 v137, 0                                      // 000000002D10: 7F120280
	v_mov_b32_e32 v98, 0                                       // 000000002D14: 7EC40280
	v_mov_b32_e32 v138, 0                                      // 000000002D18: 7F140280
	v_mov_b32_e32 v99, 0                                       // 000000002D1C: 7EC60280
	v_mov_b32_e32 v139, 0                                      // 000000002D20: 7F160280
	v_mov_b32_e32 v100, 0                                      // 000000002D24: 7EC80280
	v_mov_b32_e32 v140, 0                                      // 000000002D28: 7F180280
	v_mov_b32_e32 v101, 0                                      // 000000002D2C: 7ECA0280
	v_mov_b32_e32 v141, 0                                      // 000000002D30: 7F1A0280
	v_mov_b32_e32 v102, 0                                      // 000000002D34: 7ECC0280
	v_mov_b32_e32 v142, 0                                      // 000000002D38: 7F1C0280
	v_mov_b32_e32 v103, 0                                      // 000000002D3C: 7ECE0280
	v_mov_b32_e32 v143, 0                                      // 000000002D40: 7F1E0280
	v_mov_b32_e32 v104, 0                                      // 000000002D44: 7ED00280
	v_mov_b32_e32 v144, 0                                      // 000000002D48: 7F200280
	v_mov_b32_e32 v105, 0                                      // 000000002D4C: 7ED20280
	v_mov_b32_e32 v145, 0                                      // 000000002D50: 7F220280
	v_mov_b32_e32 v106, 0                                      // 000000002D54: 7ED40280
	v_mov_b32_e32 v146, 0                                      // 000000002D58: 7F240280
	v_mov_b32_e32 v107, 0                                      // 000000002D5C: 7ED60280
	v_mov_b32_e32 v147, 0                                      // 000000002D60: 7F260280
	v_mov_b32_e32 v108, 0                                      // 000000002D64: 7ED80280
	v_mov_b32_e32 v148, 0                                      // 000000002D68: 7F280280
	v_mov_b32_e32 v109, 0                                      // 000000002D6C: 7EDA0280
	v_mov_b32_e32 v149, 0                                      // 000000002D70: 7F2A0280
	v_mov_b32_e32 v110, 0                                      // 000000002D74: 7EDC0280
	v_mov_b32_e32 v150, 0                                      // 000000002D78: 7F2C0280
	v_mov_b32_e32 v111, 0                                      // 000000002D7C: 7EDE0280
	v_mov_b32_e32 v151, 0                                      // 000000002D80: 7F2E0280
	v_mov_b32_e32 v112, 0                                      // 000000002D84: 7EE00280
	v_mov_b32_e32 v152, 0                                      // 000000002D88: 7F300280
	v_mov_b32_e32 v113, 0                                      // 000000002D8C: 7EE20280
	v_mov_b32_e32 v153, 0                                      // 000000002D90: 7F320280
	v_mov_b32_e32 v114, 0                                      // 000000002D94: 7EE40280
	v_mov_b32_e32 v154, 0                                      // 000000002D98: 7F340280
	v_mov_b32_e32 v115, 0                                      // 000000002D9C: 7EE60280
	v_mov_b32_e32 v155, 0                                      // 000000002DA0: 7F360280
	v_mov_b32_e32 v116, 0                                      // 000000002DA4: 7EE80280
	v_mov_b32_e32 v156, 0                                      // 000000002DA8: 7F380280
	v_mov_b32_e32 v117, 0                                      // 000000002DAC: 7EEA0280
	v_mov_b32_e32 v157, 0                                      // 000000002DB0: 7F3A0280
	v_mov_b32_e32 v118, 0                                      // 000000002DB4: 7EEC0280
	v_mov_b32_e32 v158, 0                                      // 000000002DB8: 7F3C0280
	v_mov_b32_e32 v119, 0                                      // 000000002DBC: 7EEE0280
	v_mov_b32_e32 v159, 0                                      // 000000002DC0: 7F3E0280
	v_mov_b32_e32 v120, 0                                      // 000000002DC4: 7EF00280
	v_mov_b32_e32 v160, 0                                      // 000000002DC8: 7F400280
	v_mov_b32_e32 v121, 0                                      // 000000002DCC: 7EF20280
	v_mov_b32_e32 v161, 0                                      // 000000002DD0: 7F420280
	v_mov_b32_e32 v122, 0                                      // 000000002DD4: 7EF40280
	v_mov_b32_e32 v162, 0                                      // 000000002DD8: 7F440280
	v_mov_b32_e32 v123, 0                                      // 000000002DDC: 7EF60280
	v_mov_b32_e32 v163, 0                                      // 000000002DE0: 7F460280
	v_mov_b32_e32 v124, 0                                      // 000000002DE4: 7EF80280
	v_mov_b32_e32 v164, 0                                      // 000000002DE8: 7F480280
	v_mov_b32_e32 v125, 0                                      // 000000002DEC: 7EFA0280
	v_mov_b32_e32 v165, 0                                      // 000000002DF0: 7F4A0280
	v_mov_b32_e32 v126, 0                                      // 000000002DF4: 7EFC0280
	v_mov_b32_e32 v166, 0                                      // 000000002DF8: 7F4C0280
	v_mov_b32_e32 v127, 0                                      // 000000002DFC: 7EFE0280
	v_mov_b32_e32 v167, 0                                      // 000000002E00: 7F4E0280
	v_mov_b32_e32 v128, 0                                      // 000000002E04: 7F000280
	v_mov_b32_e32 v168, 0                                      // 000000002E08: 7F500280
	v_mov_b32_e32 v129, 0                                      // 000000002E0C: 7F020280
	v_mov_b32_e32 v169, 0                                      // 000000002E10: 7F520280
	v_mov_b32_e32 v130, 0                                      // 000000002E14: 7F040280
	v_mov_b32_e32 v170, 0                                      // 000000002E18: 7F540280
	v_mov_b32_e32 v131, 0                                      // 000000002E1C: 7F060280
	v_mov_b32_e32 v171, 0                                      // 000000002E20: 7F560280
	s_mul_i32 s60, s2, 0x80                                    // 000000002E24: 923CFF02 00000080
	s_cmp_eq_u32 s88, 0                                        // 000000002E2C: BF068058
	s_cselect_b32 s61, 1, 2                                    // 000000002E30: 853D8281
	s_mul_i32 s60, s60, s61                                    // 000000002E34: 923C3D3C
	s_mov_b32 s90, s8                                          // 000000002E38: BEDA0008
	s_mov_b32 s91, s9                                          // 000000002E3C: BEDB0009
	s_add_u32 s8, s60, s8                                      // 000000002E40: 8008083C
	s_addc_u32 s9, 0, s9                                       // 000000002E44: 82090980
	v_lshrrev_b32_e32 v4, 4, v0                                // 000000002E48: 20080084
	v_mul_lo_u32 v20, 34, v4                                   // 000000002E4C: D2850014 000208A2
	v_and_b32_e32 v4, 15, v0                                   // 000000002E54: 2608008F
	v_mul_lo_u32 v5, 2, v4                                     // 000000002E58: D2850005 00020882
	v_add_u32_e32 v20, v5, v20                                 // 000000002E60: 68282905
	s_mul_i32 s60, s7, 0x88                                    // 000000002E64: 923CFF07 00000088
	v_add_u32_e32 v20, s60, v20                                // 000000002E6C: 6828283C
	v_lshlrev_b32_e32 v20, 2, v20                              // 000000002E70: 24282882
	v_and_b32_e32 v4, 31, v0                                   // 000000002E74: 2608009F
	v_lshrrev_b32_e32 v4, 1, v4                                // 000000002E78: 20080881
	v_mul_lo_u32 v21, 34, v4                                   // 000000002E7C: D2850015 000208A2
	v_lshrrev_b32_e32 v4, 5, v0                                // 000000002E84: 20080085
	v_mul_lo_u32 v4, 8, v4                                     // 000000002E88: D2850004 00020888
	v_add_u32_e32 v21, v21, v4                                 // 000000002E90: 682A0915
	v_and_b32_e32 v5, 1, v0                                    // 000000002E94: 260A0081
	v_add_u32_e32 v21, v5, v21                                 // 000000002E98: 682A2B05
	s_mul_i32 s60, s7, 2                                       // 000000002E9C: 923C8207
	v_add_u32_e32 v21, s60, v21                                // 000000002EA0: 682A2A3C
	v_lshlrev_b32_e32 v21, 2, v21                              // 000000002EA4: 242A2A82
	s_mul_i32 s60, s7, 0x1420                                  // 000000002EA8: 923CFF07 00001420
	s_add_u32 s48, 0, s60                                      // 000000002EB0: 80303C80
	s_add_u32 s49, 0x5080, s48                                 // 000000002EB4: 803130FF 00005080
	s_add_u32 s50, 0x5080, s49                                 // 000000002EBC: 803231FF 00005080
	v_lshrrev_b32_e32 v4, 4, v0                                // 000000002EC4: 20080084
	v_lshlrev_b32_e32 v5, 2, v4                                // 000000002EC8: 240A0882
	v_and_b32_e32 v4, 15, v0                                   // 000000002ECC: 2608008F
	v_lshrrev_b32_e32 v6, 2, v4                                // 000000002ED0: 200C0882
	v_lshlrev_b32_e32 v6, 5, v6                                // 000000002ED4: 240C0C85
	v_add_u32_e32 v5, v6, v5                                   // 000000002ED8: 680A0B06
	v_and_b32_e32 v4, 3, v0                                    // 000000002EDC: 26080083
	v_mul_u32_u24_e32 v6, 0x508, v4                            // 000000002EE0: 100C08FF 00000508
	v_add_u32_e32 v5, v6, v5                                   // 000000002EE8: 680A0B06
	v_lshlrev_b32_e32 v2, 2, v5                                // 000000002EEC: 24040A82
	s_waitcnt lgkmcnt(0)                                       // 000000002EF0: BF8CC07F
	s_mul_i32 s60, s2, 64                                      // 000000002EF4: 923CC002
	s_mul_i32 s60, s60, s69                                    // 000000002EF8: 923C453C
	s_mul_i32 s61, s5, s72                                     // 000000002EFC: 923D4805
	s_add_u32 s60, s61, s60                                    // 000000002F00: 803C3C3D
	s_add_u32 s24, s60, s24                                    // 000000002F04: 8018183C
	s_addc_u32 s25, 0, s25                                     // 000000002F08: 82191980
	s_lshr_b32 s60, s64, s88                                   // 000000002F0C: 8F3C5840
	s_mul_i32 s60, s4, s60                                     // 000000002F10: 923C3C04
	s_lshr_b32 s60, s60, 7                                     // 000000002F14: 8F3C873C
	s_mul_i32 s60, s60, 0x800                                  // 000000002F18: 923CFF3C 00000800
	s_add_u32 s24, s60, s24                                    // 000000002F20: 8018183C
	s_addc_u32 s25, 0, s25                                     // 000000002F24: 82191980
	s_lshr_b32 s60, s69, s88                                   // 000000002F28: 8F3C5845
	s_mul_i32 s60, s4, s60                                     // 000000002F2C: 923C3C04
	s_add_u32 s20, s60, s20                                    // 000000002F30: 8014143C
	s_addc_u32 s21, 0, s21                                     // 000000002F34: 82151580
	s_mul_i32 s60, s7, 16                                      // 000000002F38: 923C9007
	s_mul_i32 s60, s60, s69                                    // 000000002F3C: 923C453C
	v_lshlrev_b32_e32 v90, 4, v0                               // 000000002F40: 24B40084
	v_add_u32_e32 v90, s60, v90                                // 000000002F44: 68B4B43C
	s_mul_i32 s60, 64, s69                                     // 000000002F48: 923C45C0
	s_mov_b32 s84, s24                                         // 000000002F4C: BED40018
	s_mov_b32 s85, s25                                         // 000000002F50: BED50019
	s_mov_b32 s86, s26                                         // 000000002F54: BED6001A
	s_mov_b32 s87, s27                                         // 000000002F58: BED7001B
	s_mul_i32 s60, s69, s65                                    // 000000002F5C: 923C4145
	s_add_u32 s84, s60, s84                                    // 000000002F60: 8054543C
	s_addc_u32 s85, 0, s85                                     // 000000002F64: 82555580
	v_lshrrev_b32_e32 v4, 4, v0                                // 000000002F68: 20080084
	v_lshlrev_b32_e32 v5, 2, v4                                // 000000002F6C: 240A0882
	v_and_b32_e32 v4, 15, v0                                   // 000000002F70: 2608008F
	v_lshrrev_b32_e32 v6, 2, v4                                // 000000002F74: 200C0882
	v_lshlrev_b32_e32 v6, 6, v6                                // 000000002F78: 240C0C86
	v_add_u32_e32 v5, v6, v5                                   // 000000002F7C: 680A0B06
	v_and_b32_e32 v4, 3, v0                                    // 000000002F80: 26080083
	v_add_u32_e32 v5, v4, v5                                   // 000000002F84: 680A0B04
	v_lshlrev_b32_e32 v22, 2, v5                               // 000000002F88: 242C0A82
	s_mul_i32 s60, s7, 16                                      // 000000002F8C: 923C9007
	s_mul_i32 s60, s60, 4                                      // 000000002F90: 923C843C
	v_add_u32_e32 v22, s60, v22                                // 000000002F94: 682C2C3C
	s_mul_i32 s60, s2, 64                                      // 000000002F98: 923CC002
	s_mul_i32 s60, s60, 4                                      // 000000002F9C: 923C843C
	s_mul_i32 s61, s5, s74                                     // 000000002FA0: 923D4A05
	s_add_u32 s61, s61, s60                                    // 000000002FA4: 803D3C3D
	s_add_u32 s32, s61, s32                                    // 000000002FA8: 8020203D
	s_addc_u32 s33, 0, s33                                     // 000000002FAC: 82212180
	s_mov_b32 s57, 0x80                                        // 000000002FB0: BEB900FF 00000080
	s_mov_b32 s58, 0x800                                       // 000000002FB8: BEBA00FF 00000800
	s_mov_b32 s83, s58                                         // 000000002FC0: BED3003A
	s_mov_b32 s52, 0x7060302                                   // 000000002FC4: BEB400FF 07060302
	s_mov_b32 s53, 0x400                                       // 000000002FCC: BEB500FF 00000400
	s_mov_b32 s54, 0x40100                                     // 000000002FD4: BEB600FF 00040100
	s_mov_b32 s55, 0x4020100                                   // 000000002FDC: BEB700FF 04020100
	s_mov_b32 s6, 0x3fb8aa3b                                   // 000000002FE4: BE8600FF 3FB8AA3B
	s_mov_b32 s78, 0xbd92220c                                  // 000000002FEC: BECE00FF BD92220C
	s_mov_b32 s79, 0xbd92220c                                  // 000000002FF4: BECF00FF BD92220C
	s_mov_b32 m0, s48                                          // 000000002FFC: BEFC0030
	v_mov_b32_e32 v1, 0xbfcc4231                               // 000000003000: 7E0202FF BFCC4231
	v_mov_b32_e32 v17, 0xffff0000                              // 000000003008: 7E2202FF FFFF0000
	v_mov_b32_e32 v18, 0x7fff0000                              // 000000003010: 7E2402FF 7FFF0000
	v_mov_b32_e32 v19, 0x7fff                                  // 000000003018: 7E2602FF 00007FFF
	s_waitcnt vmcnt(0) expcnt(0) lgkmcnt(0)                    // 000000003020: BF8C0000
	s_mul_i32 s60, s3, 0xa0                                    // 000000003024: 923CFF03 000000A0
	s_mul_i32 s60, 4, s60                                      // 00000000302C: 923C3C84
	s_add_u32 s40, s60, s40                                    // 000000003030: 8028283C
	s_addc_u32 s41, 0, s41                                     // 000000003034: 82292980
	v_and_b32_e32 v4, 15, v0                                   // 000000003038: 2608008F
	v_lshlrev_b32_e32 v4, 2, v4                                // 00000000303C: 24080882
	buffer_load_dword v172, v4, s[40:43], 0 offen              // 000000003040: E0501000 800AAC04
	buffer_load_dword v173, v4, s[40:43], 0 offen offset:64    // 000000003048: E0501040 800AAD04
	buffer_load_dword v174, v4, s[40:43], 0 offen offset:128   // 000000003050: E0501080 800AAE04
	buffer_load_dword v175, v4, s[40:43], 0 offen offset:192   // 000000003058: E05010C0 800AAF04
	buffer_load_dword v176, v4, s[40:43], 0 offen offset:256   // 000000003060: E0501100 800AB004
	buffer_load_dword v177, v4, s[40:43], 0 offen offset:320   // 000000003068: E0501140 800AB104
	buffer_load_dword v178, v4, s[40:43], 0 offen offset:384   // 000000003070: E0501180 800AB204
	buffer_load_dword v179, v4, s[40:43], 0 offen offset:448   // 000000003078: E05011C0 800AB304
	buffer_load_dword v180, v4, s[40:43], 0 offen offset:512   // 000000003080: E0501200 800AB404
	buffer_load_dword v181, v4, s[40:43], 0 offen offset:576   // 000000003088: E0501240 800AB504
	v_lshrrev_b32_e32 v4, 5, v0                                // 000000003090: 20080085
	v_xor_b32_e32 v5, 1, v4                                    // 000000003094: 2A0A0881
	v_readlane_b32 s82, v3, 0                                  // 000000003098: D2890052 00010103
	s_and_b32 s82, s82, 0xffffff                               // 0000000030A0: 8652FF52 00FFFFFF
	v_mul_lo_u32 v6, v5, s82                                   // 0000000030A8: D2850006 0000A505
	v_readlane_b32 s82, v3, 1                                  // 0000000030B0: D2890052 00010303
	s_and_b32 s82, s82, 0xffffff                               // 0000000030B8: 8652FF52 00FFFFFF
	v_mul_lo_u32 v7, v4, s82                                   // 0000000030C0: D2850007 0000A504
	v_add_u32_e32 v70, v6, v7                                  // 0000000030C8: 688C0F06
	v_mul_lo_u32 v70, v70, s68                                 // 0000000030CC: D2850046 00008946
	v_readlane_b32 s82, v3, 2                                  // 0000000030D4: D2890052 00010503
	s_and_b32 s82, s82, 0xffffff                               // 0000000030DC: 8652FF52 00FFFFFF
	v_mul_lo_u32 v6, v5, s82                                   // 0000000030E4: D2850006 0000A505
	v_readlane_b32 s82, v3, 3                                  // 0000000030EC: D2890052 00010703
	s_and_b32 s82, s82, 0xffffff                               // 0000000030F4: 8652FF52 00FFFFFF
	v_mul_lo_u32 v7, v4, s82                                   // 0000000030FC: D2850007 0000A504
	v_add_u32_e32 v71, v6, v7                                  // 000000003104: 688E0F06
	v_mul_lo_u32 v71, v71, s68                                 // 000000003108: D2850047 00008947
	v_readlane_b32 s82, v3, 4                                  // 000000003110: D2890052 00010903
	s_and_b32 s82, s82, 0xffffff                               // 000000003118: 8652FF52 00FFFFFF
	v_mul_lo_u32 v6, v5, s82                                   // 000000003120: D2850006 0000A505
	v_readlane_b32 s82, v3, 5                                  // 000000003128: D2890052 00010B03
	s_and_b32 s82, s82, 0xffffff                               // 000000003130: 8652FF52 00FFFFFF
	v_mul_lo_u32 v7, v4, s82                                   // 000000003138: D2850007 0000A504
	v_add_u32_e32 v72, v6, v7                                  // 000000003140: 68900F06
	v_mul_lo_u32 v72, v72, s68                                 // 000000003144: D2850048 00008948
	v_readlane_b32 s82, v3, 6                                  // 00000000314C: D2890052 00010D03
	s_and_b32 s82, s82, 0xffffff                               // 000000003154: 8652FF52 00FFFFFF
	v_mul_lo_u32 v6, v5, s82                                   // 00000000315C: D2850006 0000A505
	v_readlane_b32 s82, v3, 7                                  // 000000003164: D2890052 00010F03
	s_and_b32 s82, s82, 0xffffff                               // 00000000316C: 8652FF52 00FFFFFF
	v_mul_lo_u32 v7, v4, s82                                   // 000000003174: D2850007 0000A504
	v_add_u32_e32 v73, v6, v7                                  // 00000000317C: 68920F06
	v_mul_lo_u32 v73, v73, s68                                 // 000000003180: D2850049 00008949
	v_readlane_b32 s82, v3, 8                                  // 000000003188: D2890052 00011103
	s_and_b32 s82, s82, 0xffffff                               // 000000003190: 8652FF52 00FFFFFF
	v_mul_lo_u32 v6, v5, s82                                   // 000000003198: D2850006 0000A505
	v_readlane_b32 s82, v3, 9                                  // 0000000031A0: D2890052 00011303
	s_and_b32 s82, s82, 0xffffff                               // 0000000031A8: 8652FF52 00FFFFFF
	v_mul_lo_u32 v7, v4, s82                                   // 0000000031B0: D2850007 0000A504
	v_add_u32_e32 v74, v6, v7                                  // 0000000031B8: 68940F06
	v_mul_lo_u32 v74, v74, s68                                 // 0000000031BC: D285004A 0000894A
	v_readlane_b32 s82, v3, 10                                 // 0000000031C4: D2890052 00011503
	s_and_b32 s82, s82, 0xffffff                               // 0000000031CC: 8652FF52 00FFFFFF
	v_mul_lo_u32 v6, v5, s82                                   // 0000000031D4: D2850006 0000A505
	v_readlane_b32 s82, v3, 11                                 // 0000000031DC: D2890052 00011703
	s_and_b32 s82, s82, 0xffffff                               // 0000000031E4: 8652FF52 00FFFFFF
	v_mul_lo_u32 v7, v4, s82                                   // 0000000031EC: D2850007 0000A504
	v_add_u32_e32 v75, v6, v7                                  // 0000000031F4: 68960F06
	v_mul_lo_u32 v75, v75, s68                                 // 0000000031F8: D285004B 0000894B
	v_readlane_b32 s82, v3, 12                                 // 000000003200: D2890052 00011903
	s_and_b32 s82, s82, 0xffffff                               // 000000003208: 8652FF52 00FFFFFF
	v_mul_lo_u32 v6, v5, s82                                   // 000000003210: D2850006 0000A505
	v_readlane_b32 s82, v3, 13                                 // 000000003218: D2890052 00011B03
	s_and_b32 s82, s82, 0xffffff                               // 000000003220: 8652FF52 00FFFFFF
	v_mul_lo_u32 v7, v4, s82                                   // 000000003228: D2850007 0000A504
	v_add_u32_e32 v76, v6, v7                                  // 000000003230: 68980F06
	v_mul_lo_u32 v76, v76, s68                                 // 000000003234: D285004C 0000894C
	v_readlane_b32 s82, v3, 14                                 // 00000000323C: D2890052 00011D03
	s_and_b32 s82, s82, 0xffffff                               // 000000003244: 8652FF52 00FFFFFF
	v_mul_lo_u32 v6, v5, s82                                   // 00000000324C: D2850006 0000A505
	v_readlane_b32 s82, v3, 15                                 // 000000003254: D2890052 00011F03
	s_and_b32 s82, s82, 0xffffff                               // 00000000325C: 8652FF52 00FFFFFF
	v_mul_lo_u32 v7, v4, s82                                   // 000000003264: D2850007 0000A504
	v_add_u32_e32 v77, v6, v7                                  // 00000000326C: 689A0F06
	v_mul_lo_u32 v77, v77, s68                                 // 000000003270: D285004D 0000894D
	v_readlane_b32 s82, v3, 16                                 // 000000003278: D2890052 00012103
	s_and_b32 s82, s82, 0xffffff                               // 000000003280: 8652FF52 00FFFFFF
	v_mul_lo_u32 v6, v5, s82                                   // 000000003288: D2850006 0000A505
	v_readlane_b32 s82, v3, 17                                 // 000000003290: D2890052 00012303
	s_and_b32 s82, s82, 0xffffff                               // 000000003298: 8652FF52 00FFFFFF
	v_mul_lo_u32 v7, v4, s82                                   // 0000000032A0: D2850007 0000A504
	v_add_u32_e32 v78, v6, v7                                  // 0000000032A8: 689C0F06
	v_mul_lo_u32 v78, v78, s68                                 // 0000000032AC: D285004E 0000894E
	v_readlane_b32 s82, v3, 18                                 // 0000000032B4: D2890052 00012503
	s_and_b32 s82, s82, 0xffffff                               // 0000000032BC: 8652FF52 00FFFFFF
	v_mul_lo_u32 v6, v5, s82                                   // 0000000032C4: D2850006 0000A505
	v_readlane_b32 s82, v3, 19                                 // 0000000032CC: D2890052 00012703
	s_and_b32 s82, s82, 0xffffff                               // 0000000032D4: 8652FF52 00FFFFFF
	v_mul_lo_u32 v7, v4, s82                                   // 0000000032DC: D2850007 0000A504
	v_add_u32_e32 v79, v6, v7                                  // 0000000032E4: 689E0F06
	v_mul_lo_u32 v79, v79, s68                                 // 0000000032E8: D285004F 0000894F
	v_readlane_b32 s82, v3, 20                                 // 0000000032F0: D2890052 00012903
	s_and_b32 s82, s82, 0xffffff                               // 0000000032F8: 8652FF52 00FFFFFF
	v_mul_lo_u32 v6, v5, s82                                   // 000000003300: D2850006 0000A505
	v_readlane_b32 s82, v3, 21                                 // 000000003308: D2890052 00012B03
	s_and_b32 s82, s82, 0xffffff                               // 000000003310: 8652FF52 00FFFFFF
	v_mul_lo_u32 v7, v4, s82                                   // 000000003318: D2850007 0000A504
	v_add_u32_e32 v80, v6, v7                                  // 000000003320: 68A00F06
	v_mul_lo_u32 v80, v80, s68                                 // 000000003324: D2850050 00008950
	v_readlane_b32 s82, v3, 22                                 // 00000000332C: D2890052 00012D03
	s_and_b32 s82, s82, 0xffffff                               // 000000003334: 8652FF52 00FFFFFF
	v_mul_lo_u32 v6, v5, s82                                   // 00000000333C: D2850006 0000A505
	v_readlane_b32 s82, v3, 23                                 // 000000003344: D2890052 00012F03
	s_and_b32 s82, s82, 0xffffff                               // 00000000334C: 8652FF52 00FFFFFF
	v_mul_lo_u32 v7, v4, s82                                   // 000000003354: D2850007 0000A504
	v_add_u32_e32 v81, v6, v7                                  // 00000000335C: 68A20F06
	v_mul_lo_u32 v81, v81, s68                                 // 000000003360: D2850051 00008951
	v_readlane_b32 s82, v3, 24                                 // 000000003368: D2890052 00013103
	s_and_b32 s82, s82, 0xffffff                               // 000000003370: 8652FF52 00FFFFFF
	v_mul_lo_u32 v6, v5, s82                                   // 000000003378: D2850006 0000A505
	v_readlane_b32 s82, v3, 25                                 // 000000003380: D2890052 00013303
	s_and_b32 s82, s82, 0xffffff                               // 000000003388: 8652FF52 00FFFFFF
	v_mul_lo_u32 v7, v4, s82                                   // 000000003390: D2850007 0000A504
	v_add_u32_e32 v82, v6, v7                                  // 000000003398: 68A40F06
	v_mul_lo_u32 v82, v82, s68                                 // 00000000339C: D2850052 00008952
	v_readlane_b32 s82, v3, 26                                 // 0000000033A4: D2890052 00013503
	s_and_b32 s82, s82, 0xffffff                               // 0000000033AC: 8652FF52 00FFFFFF
	v_mul_lo_u32 v6, v5, s82                                   // 0000000033B4: D2850006 0000A505
	v_readlane_b32 s82, v3, 27                                 // 0000000033BC: D2890052 00013703
	s_and_b32 s82, s82, 0xffffff                               // 0000000033C4: 8652FF52 00FFFFFF
	v_mul_lo_u32 v7, v4, s82                                   // 0000000033CC: D2850007 0000A504
	v_add_u32_e32 v83, v6, v7                                  // 0000000033D4: 68A60F06
	v_mul_lo_u32 v83, v83, s68                                 // 0000000033D8: D2850053 00008953
	v_readlane_b32 s82, v3, 28                                 // 0000000033E0: D2890052 00013903
	s_and_b32 s82, s82, 0xffffff                               // 0000000033E8: 8652FF52 00FFFFFF
	v_mul_lo_u32 v6, v5, s82                                   // 0000000033F0: D2850006 0000A505
	v_readlane_b32 s82, v3, 29                                 // 0000000033F8: D2890052 00013B03
	s_and_b32 s82, s82, 0xffffff                               // 000000003400: 8652FF52 00FFFFFF
	v_mul_lo_u32 v7, v4, s82                                   // 000000003408: D2850007 0000A504
	v_add_u32_e32 v84, v6, v7                                  // 000000003410: 68A80F06
	v_mul_lo_u32 v84, v84, s68                                 // 000000003414: D2850054 00008954
	v_readlane_b32 s82, v3, 30                                 // 00000000341C: D2890052 00013D03
	s_and_b32 s82, s82, 0xffffff                               // 000000003424: 8652FF52 00FFFFFF
	v_mul_lo_u32 v6, v5, s82                                   // 00000000342C: D2850006 0000A505
	v_readlane_b32 s82, v3, 31                                 // 000000003434: D2890052 00013F03
	s_and_b32 s82, s82, 0xffffff                               // 00000000343C: 8652FF52 00FFFFFF
	v_mul_lo_u32 v7, v4, s82                                   // 000000003444: D2850007 0000A504
	v_add_u32_e32 v85, v6, v7                                  // 00000000344C: 68AA0F06
	v_mul_lo_u32 v85, v85, s68                                 // 000000003450: D2850055 00008955
	v_readlane_b32 s82, v3, 32                                 // 000000003458: D2890052 00014103
	s_and_b32 s82, s82, 0xffffff                               // 000000003460: 8652FF52 00FFFFFF
	v_mul_lo_u32 v6, v5, s82                                   // 000000003468: D2850006 0000A505
	v_readlane_b32 s82, v3, 33                                 // 000000003470: D2890052 00014303
	s_and_b32 s82, s82, 0xffffff                               // 000000003478: 8652FF52 00FFFFFF
	v_mul_lo_u32 v7, v4, s82                                   // 000000003480: D2850007 0000A504
	v_add_u32_e32 v86, v6, v7                                  // 000000003488: 68AC0F06
	v_mul_lo_u32 v86, v86, s68                                 // 00000000348C: D2850056 00008956
	v_readlane_b32 s82, v3, 34                                 // 000000003494: D2890052 00014503
	s_and_b32 s82, s82, 0xffffff                               // 00000000349C: 8652FF52 00FFFFFF
	v_mul_lo_u32 v6, v5, s82                                   // 0000000034A4: D2850006 0000A505
	v_readlane_b32 s82, v3, 35                                 // 0000000034AC: D2890052 00014703
	s_and_b32 s82, s82, 0xffffff                               // 0000000034B4: 8652FF52 00FFFFFF
	v_mul_lo_u32 v7, v4, s82                                   // 0000000034BC: D2850007 0000A504
	v_add_u32_e32 v87, v6, v7                                  // 0000000034C4: 68AE0F06
	v_mul_lo_u32 v87, v87, s68                                 // 0000000034C8: D2850057 00008957
	v_readlane_b32 s82, v3, 36                                 // 0000000034D0: D2890052 00014903
	s_and_b32 s82, s82, 0xffffff                               // 0000000034D8: 8652FF52 00FFFFFF
	v_mul_lo_u32 v6, v5, s82                                   // 0000000034E0: D2850006 0000A505
	v_readlane_b32 s82, v3, 37                                 // 0000000034E8: D2890052 00014B03
	s_and_b32 s82, s82, 0xffffff                               // 0000000034F0: 8652FF52 00FFFFFF
	v_mul_lo_u32 v7, v4, s82                                   // 0000000034F8: D2850007 0000A504
	v_add_u32_e32 v88, v6, v7                                  // 000000003500: 68B00F06
	v_mul_lo_u32 v88, v88, s68                                 // 000000003504: D2850058 00008958
	v_readlane_b32 s82, v3, 38                                 // 00000000350C: D2890052 00014D03
	s_and_b32 s82, s82, 0xffffff                               // 000000003514: 8652FF52 00FFFFFF
	v_mul_lo_u32 v6, v5, s82                                   // 00000000351C: D2850006 0000A505
	v_readlane_b32 s82, v3, 39                                 // 000000003524: D2890052 00014F03
	s_and_b32 s82, s82, 0xffffff                               // 00000000352C: 8652FF52 00FFFFFF
	v_mul_lo_u32 v7, v4, s82                                   // 000000003534: D2850007 0000A504
	v_add_u32_e32 v89, v6, v7                                  // 00000000353C: 68B20F06
	v_mul_lo_u32 v89, v89, s68                                 // 000000003540: D2850059 00008959
	v_and_b32_e32 v4, 31, v0                                   // 000000003548: 2608009F
	v_lshlrev_b32_e32 v4, 2, v4                                // 00000000354C: 24080882
	v_add_u32_e32 v70, v70, v4                                 // 000000003550: 688C0946
	v_add_u32_e32 v71, v71, v4                                 // 000000003554: 688E0947
	v_add_u32_e32 v72, v72, v4                                 // 000000003558: 68900948
	v_add_u32_e32 v73, v73, v4                                 // 00000000355C: 68920949
	v_add_u32_e32 v74, v74, v4                                 // 000000003560: 6894094A
	v_add_u32_e32 v75, v75, v4                                 // 000000003564: 6896094B
	v_add_u32_e32 v76, v76, v4                                 // 000000003568: 6898094C
	v_add_u32_e32 v77, v77, v4                                 // 00000000356C: 689A094D
	v_add_u32_e32 v78, v78, v4                                 // 000000003570: 689C094E
	v_add_u32_e32 v79, v79, v4                                 // 000000003574: 689E094F
	v_add_u32_e32 v80, v80, v4                                 // 000000003578: 68A00950
	v_add_u32_e32 v81, v81, v4                                 // 00000000357C: 68A20951
	v_add_u32_e32 v82, v82, v4                                 // 000000003580: 68A40952
	v_add_u32_e32 v83, v83, v4                                 // 000000003584: 68A60953
	v_add_u32_e32 v84, v84, v4                                 // 000000003588: 68A80954
	v_add_u32_e32 v85, v85, v4                                 // 00000000358C: 68AA0955
	v_add_u32_e32 v86, v86, v4                                 // 000000003590: 68AC0956
	v_add_u32_e32 v87, v87, v4                                 // 000000003594: 68AE0957
	v_add_u32_e32 v88, v88, v4                                 // 000000003598: 68B00958
	v_add_u32_e32 v89, v89, v4                                 // 00000000359C: 68B20959
	v_and_b32_e32 v30, 0xffffff, v30                           // 0000000035A0: 263C3CFF 00FFFFFF
	v_lshlrev_b32_e32 v30, 2, v30                              // 0000000035A8: 243C3C82
	v_and_b32_e32 v31, 0xffffff, v31                           // 0000000035AC: 263E3EFF 00FFFFFF
	v_lshlrev_b32_e32 v31, 2, v31                              // 0000000035B4: 243E3E82
	v_and_b32_e32 v32, 0xffffff, v32                           // 0000000035B8: 264040FF 00FFFFFF
	v_lshlrev_b32_e32 v32, 2, v32                              // 0000000035C0: 24404082
	v_and_b32_e32 v33, 0xffffff, v33                           // 0000000035C4: 264242FF 00FFFFFF
	v_lshlrev_b32_e32 v33, 2, v33                              // 0000000035CC: 24424282
	v_and_b32_e32 v34, 0xffffff, v34                           // 0000000035D0: 264444FF 00FFFFFF
	v_lshlrev_b32_e32 v34, 2, v34                              // 0000000035D8: 24444482
	v_and_b32_e32 v35, 0xffffff, v35                           // 0000000035DC: 264646FF 00FFFFFF
	v_lshlrev_b32_e32 v35, 2, v35                              // 0000000035E4: 24464682
	v_and_b32_e32 v36, 0xffffff, v36                           // 0000000035E8: 264848FF 00FFFFFF
	v_lshlrev_b32_e32 v36, 2, v36                              // 0000000035F0: 24484882
	v_and_b32_e32 v37, 0xffffff, v37                           // 0000000035F4: 264A4AFF 00FFFFFF
	v_lshlrev_b32_e32 v37, 2, v37                              // 0000000035FC: 244A4A82
	v_and_b32_e32 v38, 0xffffff, v38                           // 000000003600: 264C4CFF 00FFFFFF
	v_lshlrev_b32_e32 v38, 2, v38                              // 000000003608: 244C4C82
	v_and_b32_e32 v39, 0xffffff, v39                           // 00000000360C: 264E4EFF 00FFFFFF
	v_lshlrev_b32_e32 v39, 2, v39                              // 000000003614: 244E4E82
	s_lshl_b32 s3, s66, 2                                      // 000000003618: 8E038242
	buffer_load_dword v40, v30, s[28:31], 0 offen              // 00000000361C: E0501000 8007281E
	buffer_load_dword v41, v31, s[28:31], 0 offen              // 000000003624: E0501000 8007291F
	buffer_load_dword v42, v32, s[28:31], 0 offen              // 00000000362C: E0501000 80072A20
	buffer_load_dword v43, v33, s[28:31], 0 offen              // 000000003634: E0501000 80072B21
	buffer_load_dword v44, v34, s[28:31], 0 offen              // 00000000363C: E0501000 80072C22
	buffer_load_dword v45, v35, s[28:31], 0 offen              // 000000003644: E0501000 80072D23
	buffer_load_dword v46, v36, s[28:31], 0 offen              // 00000000364C: E0501000 80072E24
	buffer_load_dword v47, v37, s[28:31], 0 offen              // 000000003654: E0501000 80072F25
	buffer_load_dword v48, v38, s[28:31], 0 offen              // 00000000365C: E0501000 80073026
	buffer_load_dword v49, v39, s[28:31], 0 offen              // 000000003664: E0501000 80073127
	buffer_load_dword v24, v22, s[32:35], 0 offen              // 00000000366C: E0501000 80081816
	s_mul_i32 s60, 4, s65                                      // 000000003674: 923C4184
	s_add_u32 s32, s60, s32                                    // 000000003678: 8020203C
	s_addc_u32 s33, 0, s33                                     // 00000000367C: 82212180
	buffer_load_dword v27, v22, s[32:35], 0 offen              // 000000003680: E0501000 80081B16
	buffer_load_dword v70, s[20:23], 0 offen lds               // 000000003688: E0511000 80050046
	s_add_u32 m0, 0x100, s48                                   // 000000003690: 807C30FF 00000100
	buffer_load_dword v71, s[20:23], 0 offen lds               // 000000003698: E0511000 80050047
	s_add_u32 m0, 0x200, s48                                   // 0000000036A0: 807C30FF 00000200
	buffer_load_dword v72, s[20:23], 0 offen lds               // 0000000036A8: E0511000 80050048
	s_add_u32 m0, 0x300, s48                                   // 0000000036B0: 807C30FF 00000300
	buffer_load_dword v73, s[20:23], 0 offen lds               // 0000000036B8: E0511000 80050049
	s_add_u32 m0, 0x400, s48                                   // 0000000036C0: 807C30FF 00000400
	buffer_load_dword v74, s[20:23], 0 offen lds               // 0000000036C8: E0511000 8005004A
	s_add_u32 m0, 0x500, s48                                   // 0000000036D0: 807C30FF 00000500
	buffer_load_dword v75, s[20:23], 0 offen lds               // 0000000036D8: E0511000 8005004B
	s_add_u32 m0, 0x600, s48                                   // 0000000036E0: 807C30FF 00000600
	buffer_load_dword v76, s[20:23], 0 offen lds               // 0000000036E8: E0511000 8005004C
	s_add_u32 m0, 0x700, s48                                   // 0000000036F0: 807C30FF 00000700
	buffer_load_dword v77, s[20:23], 0 offen lds               // 0000000036F8: E0511000 8005004D
	s_add_u32 m0, 0x800, s48                                   // 000000003700: 807C30FF 00000800
	buffer_load_dword v78, s[20:23], 0 offen lds               // 000000003708: E0511000 8005004E
	s_add_u32 m0, 0x900, s48                                   // 000000003710: 807C30FF 00000900
	buffer_load_dword v79, s[20:23], 0 offen lds               // 000000003718: E0511000 8005004F
	s_add_u32 m0, 0xa00, s48                                   // 000000003720: 807C30FF 00000A00
	buffer_load_dword v80, s[20:23], 0 offen lds               // 000000003728: E0511000 80050050
	s_add_u32 m0, 0xb00, s48                                   // 000000003730: 807C30FF 00000B00
	buffer_load_dword v81, s[20:23], 0 offen lds               // 000000003738: E0511000 80050051
	s_add_u32 m0, 0xc00, s48                                   // 000000003740: 807C30FF 00000C00
	buffer_load_dword v82, s[20:23], 0 offen lds               // 000000003748: E0511000 80050052
	s_add_u32 m0, 0xd00, s48                                   // 000000003750: 807C30FF 00000D00
	buffer_load_dword v83, s[20:23], 0 offen lds               // 000000003758: E0511000 80050053
	s_add_u32 m0, 0xe00, s48                                   // 000000003760: 807C30FF 00000E00
	buffer_load_dword v84, s[20:23], 0 offen lds               // 000000003768: E0511000 80050054
	s_add_u32 m0, 0xf00, s48                                   // 000000003770: 807C30FF 00000F00
	buffer_load_dword v85, s[20:23], 0 offen lds               // 000000003778: E0511000 80050055
	s_add_u32 m0, 0x1000, s48                                  // 000000003780: 807C30FF 00001000
	buffer_load_dword v86, s[20:23], 0 offen lds               // 000000003788: E0511000 80050056
	s_add_u32 m0, 0x1100, s48                                  // 000000003790: 807C30FF 00001100
	buffer_load_dword v87, s[20:23], 0 offen lds               // 000000003798: E0511000 80050057
	s_add_u32 m0, 0x1200, s48                                  // 0000000037A0: 807C30FF 00001200
	buffer_load_dword v88, s[20:23], 0 offen lds               // 0000000037A8: E0511000 80050058
	s_add_u32 m0, 0x1300, s48                                  // 0000000037B0: 807C30FF 00001300
	buffer_load_dword v89, s[20:23], 0 offen lds               // 0000000037B8: E0511000 80050059
	s_add_u32 m0, 0, s49                                       // 0000000037C0: 807C3180
	s_add_u32 s20, s57, s20                                    // 0000000037C4: 80141439
	s_addc_u32 s21, 0, s21                                     // 0000000037C8: 82151580
	buffer_load_dwordx4 a[160:163], v90, s[24:27], 0 offen     // 0000000037CC: E05C1000 8086A05A
	buffer_load_dwordx4 a[164:167], v90, s[24:27], 0 offen offset:1024// 0000000037D4: E05C1400 8086A45A
	s_add_u32 s24, s58, s24                                    // 0000000037DC: 8018183A
	s_addc_u32 s25, 0, s25                                     // 0000000037E0: 82191980
	buffer_load_dword v70, s[20:23], 0 offen lds               // 0000000037E4: E0511000 80050046
	s_add_u32 m0, 0x100, s49                                   // 0000000037EC: 807C31FF 00000100
	buffer_load_dword v71, s[20:23], 0 offen lds               // 0000000037F4: E0511000 80050047
	s_add_u32 m0, 0x200, s49                                   // 0000000037FC: 807C31FF 00000200
	buffer_load_dword v72, s[20:23], 0 offen lds               // 000000003804: E0511000 80050048
	s_add_u32 m0, 0x300, s49                                   // 00000000380C: 807C31FF 00000300
	buffer_load_dword v73, s[20:23], 0 offen lds               // 000000003814: E0511000 80050049
	s_add_u32 m0, 0x400, s49                                   // 00000000381C: 807C31FF 00000400
	buffer_load_dword v74, s[20:23], 0 offen lds               // 000000003824: E0511000 8005004A
	s_add_u32 m0, 0x500, s49                                   // 00000000382C: 807C31FF 00000500
	buffer_load_dword v75, s[20:23], 0 offen lds               // 000000003834: E0511000 8005004B
	s_add_u32 m0, 0x600, s49                                   // 00000000383C: 807C31FF 00000600
	buffer_load_dword v76, s[20:23], 0 offen lds               // 000000003844: E0511000 8005004C
	s_add_u32 m0, 0x700, s49                                   // 00000000384C: 807C31FF 00000700
	buffer_load_dword v77, s[20:23], 0 offen lds               // 000000003854: E0511000 8005004D
	s_add_u32 m0, 0x800, s49                                   // 00000000385C: 807C31FF 00000800
	buffer_load_dword v78, s[20:23], 0 offen lds               // 000000003864: E0511000 8005004E
	s_add_u32 m0, 0x900, s49                                   // 00000000386C: 807C31FF 00000900
	buffer_load_dword v79, s[20:23], 0 offen lds               // 000000003874: E0511000 8005004F
	s_add_u32 m0, 0xa00, s49                                   // 00000000387C: 807C31FF 00000A00
	buffer_load_dword v80, s[20:23], 0 offen lds               // 000000003884: E0511000 80050050
	s_add_u32 m0, 0xb00, s49                                   // 00000000388C: 807C31FF 00000B00
	buffer_load_dword v81, s[20:23], 0 offen lds               // 000000003894: E0511000 80050051
	s_add_u32 m0, 0xc00, s49                                   // 00000000389C: 807C31FF 00000C00
	buffer_load_dword v82, s[20:23], 0 offen lds               // 0000000038A4: E0511000 80050052
	s_add_u32 m0, 0xd00, s49                                   // 0000000038AC: 807C31FF 00000D00
	buffer_load_dword v83, s[20:23], 0 offen lds               // 0000000038B4: E0511000 80050053
	s_add_u32 m0, 0xe00, s49                                   // 0000000038BC: 807C31FF 00000E00
	buffer_load_dword v84, s[20:23], 0 offen lds               // 0000000038C4: E0511000 80050054
	s_add_u32 m0, 0xf00, s49                                   // 0000000038CC: 807C31FF 00000F00
	buffer_load_dword v85, s[20:23], 0 offen lds               // 0000000038D4: E0511000 80050055
	s_add_u32 m0, 0x1000, s49                                  // 0000000038DC: 807C31FF 00001000
	buffer_load_dword v86, s[20:23], 0 offen lds               // 0000000038E4: E0511000 80050056
	s_add_u32 m0, 0x1100, s49                                  // 0000000038EC: 807C31FF 00001100
	buffer_load_dword v87, s[20:23], 0 offen lds               // 0000000038F4: E0511000 80050057
	s_add_u32 m0, 0x1200, s49                                  // 0000000038FC: 807C31FF 00001200
	buffer_load_dword v88, s[20:23], 0 offen lds               // 000000003904: E0511000 80050058
	s_add_u32 m0, 0x1300, s49                                  // 00000000390C: 807C31FF 00001300
	buffer_load_dword v89, s[20:23], 0 offen lds               // 000000003914: E0511000 80050059
	s_add_u32 m0, 0, s50                                       // 00000000391C: 807C3280
	s_add_u32 s20, s57, s20                                    // 000000003920: 80141439
	s_addc_u32 s21, 0, s21                                     // 000000003924: 82151580
	buffer_load_dwordx4 a[168:171], v90, s[84:87], 0 offen     // 000000003928: E05C1000 8095A85A
	buffer_load_dwordx4 a[172:175], v90, s[84:87], 0 offen offset:1024// 000000003930: E05C1400 8095AC5A
	s_add_u32 s84, s83, s84                                    // 000000003938: 80545453
	s_addc_u32 s85, 0, s85                                     // 00000000393C: 82555580
	s_waitcnt vmcnt(24)                                        // 000000003940: BF8C4F78
	s_barrier                                                  // 000000003944: BF8A0000
	ds_read_b128 a[0:3], v2                                    // 000000003948: DBFE0000 00000002
	ds_read_b128 a[4:7], v2 offset:64                          // 000000003950: DBFE0040 04000002
	ds_read_b128 a[8:11], v2 offset:512                        // 000000003958: DBFE0200 08000002
	ds_read_b128 a[12:15], v2 offset:576                       // 000000003960: DBFE0240 0C000002
	ds_read_b128 a[16:19], v2 offset:1024                      // 000000003968: DBFE0400 10000002
	ds_read_b128 a[20:23], v2 offset:1088                      // 000000003970: DBFE0440 14000002
	ds_read_b128 a[24:27], v2 offset:1536                      // 000000003978: DBFE0600 18000002
	ds_read_b128 a[28:31], v2 offset:1600                      // 000000003980: DBFE0640 1C000002
	ds_read_b128 a[32:35], v2 offset:2048                      // 000000003988: DBFE0800 20000002
	ds_read_b128 a[36:39], v2 offset:2112                      // 000000003990: DBFE0840 24000002
	ds_read_b128 a[40:43], v2 offset:2560                      // 000000003998: DBFE0A00 28000002
	ds_read_b128 a[44:47], v2 offset:2624                      // 0000000039A0: DBFE0A40 2C000002
	ds_read_b128 a[48:51], v2 offset:3072                      // 0000000039A8: DBFE0C00 30000002
	ds_read_b128 a[52:55], v2 offset:3136                      // 0000000039B0: DBFE0C40 34000002
	ds_read_b128 a[56:59], v2 offset:3584                      // 0000000039B8: DBFE0E00 38000002
	ds_read_b128 a[60:63], v2 offset:3648                      // 0000000039C0: DBFE0E40 3C000002
	ds_read_b128 a[64:67], v2 offset:4096                      // 0000000039C8: DBFE1000 40000002
	ds_read_b128 a[68:71], v2 offset:4160                      // 0000000039D0: DBFE1040 44000002
	ds_read_b128 a[72:75], v2 offset:4608                      // 0000000039D8: DBFE1200 48000002
	ds_read_b128 a[76:79], v2 offset:4672                      // 0000000039E0: DBFE1240 4C000002
	s_cmp_lt_i32 s7, 2                                         // 0000000039E8: BF048207
	s_cbranch_scc0 label_1C31                                  // 0000000039EC: BF841832

00000000000039f0 <label_03FC>:
	s_waitcnt vmcnt(22) lgkmcnt(0)                             // 0000000039F0: BF8C4076
	v_mfma_f32_16x16x32_fp8_fp8 v[92:95], a[160:161], a[0:1], v[92:95]// 0000000039F4: D3F3005C 1D7201A0
	v_mfma_f32_16x16x32_fp8_fp8 v[92:95], a[162:163], a[2:3], v[92:95]// 0000000039FC: D3F3005C 1D7205A2
	buffer_load_dwordx4 a[176:179], v90, s[24:27], 0 offen     // 000000003A04: E05C1000 8086B05A
	v_mfma_f32_16x16x32_fp8_fp8 v[92:95], a[164:165], a[4:5], v[92:95]// 000000003A0C: D3F3005C 1D7209A4
	v_mfma_f32_16x16x32_fp8_fp8 v[92:95], a[166:167], a[6:7], v[92:95]// 000000003A14: D3F3005C 1D720DA6
	v_mfma_f32_16x16x32_fp8_fp8 v[96:99], a[160:161], a[8:9], v[96:99]// 000000003A1C: D3F30060 1D8211A0
	v_mfma_f32_16x16x32_fp8_fp8 v[96:99], a[162:163], a[10:11], v[96:99]// 000000003A24: D3F30060 1D8215A2
	buffer_load_dwordx4 a[180:183], v90, s[24:27], 0 offen offset:1024// 000000003A2C: E05C1400 8086B45A
	buffer_load_dword v70, s[20:23], 0 offen lds               // 000000003A34: E0511000 80050046
	s_add_u32 m0, 0x100, s50                                   // 000000003A3C: 807C32FF 00000100
	v_mfma_f32_16x16x32_fp8_fp8 v[96:99], a[164:165], a[12:13], v[96:99]// 000000003A44: D3F30060 1D8219A4
	v_mfma_f32_16x16x32_fp8_fp8 v[96:99], a[166:167], a[14:15], v[96:99]// 000000003A4C: D3F30060 1D821DA6
	buffer_load_dword v71, s[20:23], 0 offen lds               // 000000003A54: E0511000 80050047
	s_add_u32 m0, 0x200, s50                                   // 000000003A5C: 807C32FF 00000200
	v_mfma_f32_16x16x32_fp8_fp8 v[100:103], a[160:161], a[16:17], v[100:103]// 000000003A64: D3F30064 1D9221A0
	v_mfma_f32_16x16x32_fp8_fp8 v[100:103], a[162:163], a[18:19], v[100:103]// 000000003A6C: D3F30064 1D9225A2
	buffer_load_dword v72, s[20:23], 0 offen lds               // 000000003A74: E0511000 80050048
	s_add_u32 m0, 0x300, s50                                   // 000000003A7C: 807C32FF 00000300
	v_mfma_f32_16x16x32_fp8_fp8 v[100:103], a[164:165], a[20:21], v[100:103]// 000000003A84: D3F30064 1D9229A4
	v_mfma_f32_16x16x32_fp8_fp8 v[100:103], a[166:167], a[22:23], v[100:103]// 000000003A8C: D3F30064 1D922DA6
	buffer_load_dword v73, s[20:23], 0 offen lds               // 000000003A94: E0511000 80050049
	s_add_u32 m0, 0x400, s50                                   // 000000003A9C: 807C32FF 00000400
	v_mfma_f32_16x16x32_fp8_fp8 v[104:107], a[160:161], a[24:25], v[104:107]// 000000003AA4: D3F30068 1DA231A0
	v_mfma_f32_16x16x32_fp8_fp8 v[104:107], a[162:163], a[26:27], v[104:107]// 000000003AAC: D3F30068 1DA235A2
	buffer_load_dword v74, s[20:23], 0 offen lds               // 000000003AB4: E0511000 8005004A
	s_add_u32 m0, 0x500, s50                                   // 000000003ABC: 807C32FF 00000500
	v_mfma_f32_16x16x32_fp8_fp8 v[104:107], a[164:165], a[28:29], v[104:107]// 000000003AC4: D3F30068 1DA239A4
	v_mfma_f32_16x16x32_fp8_fp8 v[104:107], a[166:167], a[30:31], v[104:107]// 000000003ACC: D3F30068 1DA23DA6
	buffer_load_dword v75, s[20:23], 0 offen lds               // 000000003AD4: E0511000 8005004B
	s_add_u32 m0, 0x600, s50                                   // 000000003ADC: 807C32FF 00000600
	v_mfma_f32_16x16x32_fp8_fp8 v[108:111], a[160:161], a[32:33], v[108:111]// 000000003AE4: D3F3006C 1DB241A0
	v_mfma_f32_16x16x32_fp8_fp8 v[108:111], a[162:163], a[34:35], v[108:111]// 000000003AEC: D3F3006C 1DB245A2
	buffer_load_dword v76, s[20:23], 0 offen lds               // 000000003AF4: E0511000 8005004C
	s_add_u32 m0, 0x700, s50                                   // 000000003AFC: 807C32FF 00000700
	v_mfma_f32_16x16x32_fp8_fp8 v[108:111], a[164:165], a[36:37], v[108:111]// 000000003B04: D3F3006C 1DB249A4
	v_mfma_f32_16x16x32_fp8_fp8 v[108:111], a[166:167], a[38:39], v[108:111]// 000000003B0C: D3F3006C 1DB24DA6
	buffer_load_dword v77, s[20:23], 0 offen lds               // 000000003B14: E0511000 8005004D
	s_add_u32 m0, 0x800, s50                                   // 000000003B1C: 807C32FF 00000800
	v_mfma_f32_16x16x32_fp8_fp8 v[112:115], a[160:161], a[40:41], v[112:115]// 000000003B24: D3F30070 1DC251A0
	v_mfma_f32_16x16x32_fp8_fp8 v[112:115], a[162:163], a[42:43], v[112:115]// 000000003B2C: D3F30070 1DC255A2
	buffer_load_dword v78, s[20:23], 0 offen lds               // 000000003B34: E0511000 8005004E
	s_add_u32 m0, 0x900, s50                                   // 000000003B3C: 807C32FF 00000900
	v_mfma_f32_16x16x32_fp8_fp8 v[112:115], a[164:165], a[44:45], v[112:115]// 000000003B44: D3F30070 1DC259A4
	v_mfma_f32_16x16x32_fp8_fp8 v[112:115], a[166:167], a[46:47], v[112:115]// 000000003B4C: D3F30070 1DC25DA6
	buffer_load_dword v79, s[20:23], 0 offen lds               // 000000003B54: E0511000 8005004F
	s_add_u32 m0, 0xa00, s50                                   // 000000003B5C: 807C32FF 00000A00
	v_mfma_f32_16x16x32_fp8_fp8 v[116:119], a[160:161], a[48:49], v[116:119]// 000000003B64: D3F30074 1DD261A0
	v_mfma_f32_16x16x32_fp8_fp8 v[116:119], a[162:163], a[50:51], v[116:119]// 000000003B6C: D3F30074 1DD265A2
	buffer_load_dword v80, s[20:23], 0 offen lds               // 000000003B74: E0511000 80050050
	s_add_u32 m0, 0xb00, s50                                   // 000000003B7C: 807C32FF 00000B00
	v_mfma_f32_16x16x32_fp8_fp8 v[116:119], a[164:165], a[52:53], v[116:119]// 000000003B84: D3F30074 1DD269A4
	v_mfma_f32_16x16x32_fp8_fp8 v[116:119], a[166:167], a[54:55], v[116:119]// 000000003B8C: D3F30074 1DD26DA6
	buffer_load_dword v81, s[20:23], 0 offen lds               // 000000003B94: E0511000 80050051
	s_add_u32 m0, 0xc00, s50                                   // 000000003B9C: 807C32FF 00000C00
	v_mfma_f32_16x16x32_fp8_fp8 v[120:123], a[160:161], a[56:57], v[120:123]// 000000003BA4: D3F30078 1DE271A0
	v_mfma_f32_16x16x32_fp8_fp8 v[120:123], a[162:163], a[58:59], v[120:123]// 000000003BAC: D3F30078 1DE275A2
	buffer_load_dword v82, s[20:23], 0 offen lds               // 000000003BB4: E0511000 80050052
	s_add_u32 m0, 0xd00, s50                                   // 000000003BBC: 807C32FF 00000D00
	v_mfma_f32_16x16x32_fp8_fp8 v[120:123], a[164:165], a[60:61], v[120:123]// 000000003BC4: D3F30078 1DE279A4
	v_mfma_f32_16x16x32_fp8_fp8 v[120:123], a[166:167], a[62:63], v[120:123]// 000000003BCC: D3F30078 1DE27DA6
	buffer_load_dword v83, s[20:23], 0 offen lds               // 000000003BD4: E0511000 80050053
	s_add_u32 m0, 0xe00, s50                                   // 000000003BDC: 807C32FF 00000E00
	v_mfma_f32_16x16x32_fp8_fp8 v[124:127], a[160:161], a[64:65], v[124:127]// 000000003BE4: D3F3007C 1DF281A0
	v_mfma_f32_16x16x32_fp8_fp8 v[124:127], a[162:163], a[66:67], v[124:127]// 000000003BEC: D3F3007C 1DF285A2
	buffer_load_dword v84, s[20:23], 0 offen lds               // 000000003BF4: E0511000 80050054
	s_add_u32 m0, 0xf00, s50                                   // 000000003BFC: 807C32FF 00000F00
	v_mfma_f32_16x16x32_fp8_fp8 v[124:127], a[164:165], a[68:69], v[124:127]// 000000003C04: D3F3007C 1DF289A4
	v_mfma_f32_16x16x32_fp8_fp8 v[124:127], a[166:167], a[70:71], v[124:127]// 000000003C0C: D3F3007C 1DF28DA6
	buffer_load_dword v85, s[20:23], 0 offen lds               // 000000003C14: E0511000 80050055
	s_add_u32 m0, 0x1000, s50                                  // 000000003C1C: 807C32FF 00001000
	v_mfma_f32_16x16x32_fp8_fp8 v[128:131], a[160:161], a[72:73], v[128:131]// 000000003C24: D3F30080 1E0291A0
	v_mfma_f32_16x16x32_fp8_fp8 v[128:131], a[162:163], a[74:75], v[128:131]// 000000003C2C: D3F30080 1E0295A2
	buffer_load_dword v86, s[20:23], 0 offen lds               // 000000003C34: E0511000 80050056
	s_add_u32 m0, 0x1100, s50                                  // 000000003C3C: 807C32FF 00001100
	v_mfma_f32_16x16x32_fp8_fp8 v[128:131], a[164:165], a[76:77], v[128:131]// 000000003C44: D3F30080 1E0299A4
	v_mfma_f32_16x16x32_fp8_fp8 v[128:131], a[166:167], a[78:79], v[128:131]// 000000003C4C: D3F30080 1E029DA6
	buffer_load_dword v87, s[20:23], 0 offen lds               // 000000003C54: E0511000 80050057
	s_add_u32 m0, 0x1200, s50                                  // 000000003C5C: 807C32FF 00001200
	buffer_load_dword v88, s[20:23], 0 offen lds               // 000000003C64: E0511000 80050058
	s_add_u32 m0, 0x1300, s50                                  // 000000003C6C: 807C32FF 00001300
	buffer_load_dword v89, s[20:23], 0 offen lds               // 000000003C74: E0511000 80050059
	s_add_u32 m0, 0, s48                                       // 000000003C7C: 807C3080
	s_waitcnt vmcnt(22)                                        // 000000003C80: BF8C4F76
	s_barrier                                                  // 000000003C84: BF8A0000
	v_mfma_f32_16x16x32_fp8_fp8 v[132:135], a[168:169], a[0:1], v[132:135]// 000000003C88: D3F30084 1E1201A8
	v_mfma_f32_16x16x32_fp8_fp8 v[132:135], a[170:171], a[2:3], v[132:135]// 000000003C90: D3F30084 1E1205AA
	buffer_load_dwordx4 a[160:163], v90, s[84:87], 0 offen     // 000000003C98: E05C1000 8095A05A
	v_mfma_f32_16x16x32_fp8_fp8 v[132:135], a[172:173], a[4:5], v[132:135]// 000000003CA0: D3F30084 1E1209AC
	v_mfma_f32_16x16x32_fp8_fp8 v[132:135], a[174:175], a[6:7], v[132:135]// 000000003CA8: D3F30084 1E120DAE
	ds_read_b128 a[80:83], v2 offset:20608                     // 000000003CB0: DBFE5080 50000002
	ds_read_b128 a[84:87], v2 offset:20672                     // 000000003CB8: DBFE50C0 54000002
	v_mfma_f32_16x16x32_fp8_fp8 v[136:139], a[168:169], a[8:9], v[136:139]// 000000003CC0: D3F30088 1E2211A8
	v_mfma_f32_16x16x32_fp8_fp8 v[136:139], a[170:171], a[10:11], v[136:139]// 000000003CC8: D3F30088 1E2215AA
	buffer_load_dwordx4 a[164:167], v90, s[84:87], 0 offen offset:1024// 000000003CD0: E05C1400 8095A45A
	v_mfma_f32_16x16x32_fp8_fp8 v[136:139], a[172:173], a[12:13], v[136:139]// 000000003CD8: D3F30088 1E2219AC
	v_mfma_f32_16x16x32_fp8_fp8 v[136:139], a[174:175], a[14:15], v[136:139]// 000000003CE0: D3F30088 1E221DAE
	ds_read_b128 a[88:91], v2 offset:21120                     // 000000003CE8: DBFE5280 58000002
	ds_read_b128 a[92:95], v2 offset:21184                     // 000000003CF0: DBFE52C0 5C000002
	v_mfma_f32_16x16x32_fp8_fp8 v[140:143], a[168:169], a[16:17], v[140:143]// 000000003CF8: D3F3008C 1E3221A8
	v_mfma_f32_16x16x32_fp8_fp8 v[140:143], a[170:171], a[18:19], v[140:143]// 000000003D00: D3F3008C 1E3225AA
	v_mfma_f32_16x16x32_fp8_fp8 v[140:143], a[172:173], a[20:21], v[140:143]// 000000003D08: D3F3008C 1E3229AC
	v_mfma_f32_16x16x32_fp8_fp8 v[140:143], a[174:175], a[22:23], v[140:143]// 000000003D10: D3F3008C 1E322DAE
	ds_read_b128 a[96:99], v2 offset:21632                     // 000000003D18: DBFE5480 60000002
	ds_read_b128 a[100:103], v2 offset:21696                   // 000000003D20: DBFE54C0 64000002
	v_mfma_f32_16x16x32_fp8_fp8 v[144:147], a[168:169], a[24:25], v[144:147]// 000000003D28: D3F30090 1E4231A8
	v_mfma_f32_16x16x32_fp8_fp8 v[144:147], a[170:171], a[26:27], v[144:147]// 000000003D30: D3F30090 1E4235AA
	v_mfma_f32_16x16x32_fp8_fp8 v[144:147], a[172:173], a[28:29], v[144:147]// 000000003D38: D3F30090 1E4239AC
	v_mfma_f32_16x16x32_fp8_fp8 v[144:147], a[174:175], a[30:31], v[144:147]// 000000003D40: D3F30090 1E423DAE
	ds_read_b128 a[104:107], v2 offset:22144                   // 000000003D48: DBFE5680 68000002
	ds_read_b128 a[108:111], v2 offset:22208                   // 000000003D50: DBFE56C0 6C000002
	v_mfma_f32_16x16x32_fp8_fp8 v[148:151], a[168:169], a[32:33], v[148:151]// 000000003D58: D3F30094 1E5241A8
	v_mfma_f32_16x16x32_fp8_fp8 v[148:151], a[170:171], a[34:35], v[148:151]// 000000003D60: D3F30094 1E5245AA
	v_mfma_f32_16x16x32_fp8_fp8 v[148:151], a[172:173], a[36:37], v[148:151]// 000000003D68: D3F30094 1E5249AC
	v_mfma_f32_16x16x32_fp8_fp8 v[148:151], a[174:175], a[38:39], v[148:151]// 000000003D70: D3F30094 1E524DAE
	ds_read_b128 a[112:115], v2 offset:22656                   // 000000003D78: DBFE5880 70000002
	ds_read_b128 a[116:119], v2 offset:22720                   // 000000003D80: DBFE58C0 74000002
	v_mfma_f32_16x16x32_fp8_fp8 v[152:155], a[168:169], a[40:41], v[152:155]// 000000003D88: D3F30098 1E6251A8
	v_mfma_f32_16x16x32_fp8_fp8 v[152:155], a[170:171], a[42:43], v[152:155]// 000000003D90: D3F30098 1E6255AA
	v_mfma_f32_16x16x32_fp8_fp8 v[152:155], a[172:173], a[44:45], v[152:155]// 000000003D98: D3F30098 1E6259AC
	v_mfma_f32_16x16x32_fp8_fp8 v[152:155], a[174:175], a[46:47], v[152:155]// 000000003DA0: D3F30098 1E625DAE
	ds_read_b128 a[120:123], v2 offset:23168                   // 000000003DA8: DBFE5A80 78000002
	ds_read_b128 a[124:127], v2 offset:23232                   // 000000003DB0: DBFE5AC0 7C000002
	v_mfma_f32_16x16x32_fp8_fp8 v[156:159], a[168:169], a[48:49], v[156:159]// 000000003DB8: D3F3009C 1E7261A8
	v_mfma_f32_16x16x32_fp8_fp8 v[156:159], a[170:171], a[50:51], v[156:159]// 000000003DC0: D3F3009C 1E7265AA
	v_mfma_f32_16x16x32_fp8_fp8 v[156:159], a[172:173], a[52:53], v[156:159]// 000000003DC8: D3F3009C 1E7269AC
	v_mfma_f32_16x16x32_fp8_fp8 v[156:159], a[174:175], a[54:55], v[156:159]// 000000003DD0: D3F3009C 1E726DAE
	ds_read_b128 a[128:131], v2 offset:23680                   // 000000003DD8: DBFE5C80 80000002
	ds_read_b128 a[132:135], v2 offset:23744                   // 000000003DE0: DBFE5CC0 84000002
	v_mfma_f32_16x16x32_fp8_fp8 v[160:163], a[168:169], a[56:57], v[160:163]// 000000003DE8: D3F300A0 1E8271A8
	v_mfma_f32_16x16x32_fp8_fp8 v[160:163], a[170:171], a[58:59], v[160:163]// 000000003DF0: D3F300A0 1E8275AA
	v_mfma_f32_16x16x32_fp8_fp8 v[160:163], a[172:173], a[60:61], v[160:163]// 000000003DF8: D3F300A0 1E8279AC
	v_mfma_f32_16x16x32_fp8_fp8 v[160:163], a[174:175], a[62:63], v[160:163]// 000000003E00: D3F300A0 1E827DAE
	ds_read_b128 a[136:139], v2 offset:24192                   // 000000003E08: DBFE5E80 88000002
	ds_read_b128 a[140:143], v2 offset:24256                   // 000000003E10: DBFE5EC0 8C000002
	v_mfma_f32_16x16x32_fp8_fp8 v[164:167], a[168:169], a[64:65], v[164:167]// 000000003E18: D3F300A4 1E9281A8
	s_add_u32 s60, 0x180, s80                                  // 000000003E20: 803C50FF 00000180
	s_cmp_lt_u32 s60, s81                                      // 000000003E28: BF0A513C
	s_cselect_b32 s57, s57, 0                                  // 000000003E2C: 85398039
	v_mfma_f32_16x16x32_fp8_fp8 v[164:167], a[170:171], a[66:67], v[164:167]// 000000003E30: D3F300A4 1E9285AA
	s_add_u32 s60, 0x100, s80                                  // 000000003E38: 803C50FF 00000100
	s_cmp_lt_u32 s60, s81                                      // 000000003E40: BF0A513C
	s_cselect_b32 s58, s58, 0                                  // 000000003E44: 853A803A
	v_mfma_f32_16x16x32_fp8_fp8 v[164:167], a[172:173], a[68:69], v[164:167]// 000000003E48: D3F300A4 1E9289AC
	s_add_u32 s60, 0x100, s80                                  // 000000003E50: 803C50FF 00000100
	s_cmp_lt_u32 s60, s81                                      // 000000003E58: BF0A513C
	s_cselect_b32 s83, s83, 0                                  // 000000003E5C: 85538053
	v_mfma_f32_16x16x32_fp8_fp8 v[164:167], a[174:175], a[70:71], v[164:167]// 000000003E60: D3F300A4 1E928DAE
	ds_read_b128 a[144:147], v2 offset:24704                   // 000000003E68: DBFE6080 90000002
	ds_read_b128 a[148:151], v2 offset:24768                   // 000000003E70: DBFE60C0 94000002
	s_add_u32 s24, s58, s24                                    // 000000003E78: 8018183A
	s_addc_u32 s25, 0, s25                                     // 000000003E7C: 82191980
	v_mfma_f32_16x16x32_fp8_fp8 v[168:171], a[168:169], a[72:73], v[168:171]// 000000003E80: D3F300A8 1EA291A8
	s_add_u32 s20, s57, s20                                    // 000000003E88: 80141439
	s_addc_u32 s21, 0, s21                                     // 000000003E8C: 82151580
	v_mfma_f32_16x16x32_fp8_fp8 v[168:171], a[170:171], a[74:75], v[168:171]// 000000003E90: D3F300A8 1EA295AA
	s_add_u32 s84, s83, s84                                    // 000000003E98: 80545453
	s_addc_u32 s85, 0, s85                                     // 000000003E9C: 82555580
	v_mfma_f32_16x16x32_fp8_fp8 v[168:171], a[172:173], a[76:77], v[168:171]// 000000003EA0: D3F300A8 1EA299AC
	v_mfma_f32_16x16x32_fp8_fp8 v[168:171], a[174:175], a[78:79], v[168:171]// 000000003EA8: D3F300A8 1EA29DAE
	ds_read_b128 a[152:155], v2 offset:25216                   // 000000003EB0: DBFE6280 98000002
	ds_read_b128 a[156:159], v2 offset:25280                   // 000000003EB8: DBFE62C0 9C000002
	s_addk_i32 s80, 0x80                                       // 000000003EC0: B7500080
	s_cmp_lt_i32 s80, s81                                      // 000000003EC4: BF045150
	s_cbranch_scc0 label_0B47                                  // 000000003EC8: BF840614
	s_waitcnt vmcnt(22) lgkmcnt(0)                             // 000000003ECC: BF8C4076
	v_mfma_f32_16x16x32_fp8_fp8 v[92:95], a[176:177], a[80:81], v[92:95]// 000000003ED0: D3F3005C 1D72A1B0
	v_mfma_f32_16x16x32_fp8_fp8 v[92:95], a[178:179], a[82:83], v[92:95]// 000000003ED8: D3F3005C 1D72A5B2
	buffer_load_dwordx4 a[168:171], v90, s[24:27], 0 offen     // 000000003EE0: E05C1000 8086A85A
	v_mfma_f32_16x16x32_fp8_fp8 v[92:95], a[180:181], a[84:85], v[92:95]// 000000003EE8: D3F3005C 1D72A9B4
	v_mfma_f32_16x16x32_fp8_fp8 v[92:95], a[182:183], a[86:87], v[92:95]// 000000003EF0: D3F3005C 1D72ADB6
	v_mfma_f32_16x16x32_fp8_fp8 v[96:99], a[176:177], a[88:89], v[96:99]// 000000003EF8: D3F30060 1D82B1B0
	v_mfma_f32_16x16x32_fp8_fp8 v[96:99], a[178:179], a[90:91], v[96:99]// 000000003F00: D3F30060 1D82B5B2
	buffer_load_dwordx4 a[172:175], v90, s[24:27], 0 offen offset:1024// 000000003F08: E05C1400 8086AC5A
	buffer_load_dword v70, s[20:23], 0 offen lds               // 000000003F10: E0511000 80050046
	s_add_u32 m0, 0x100, s48                                   // 000000003F18: 807C30FF 00000100
	v_mfma_f32_16x16x32_fp8_fp8 v[96:99], a[180:181], a[92:93], v[96:99]// 000000003F20: D3F30060 1D82B9B4
	v_mfma_f32_16x16x32_fp8_fp8 v[96:99], a[182:183], a[94:95], v[96:99]// 000000003F28: D3F30060 1D82BDB6
	buffer_load_dword v71, s[20:23], 0 offen lds               // 000000003F30: E0511000 80050047
	s_add_u32 m0, 0x200, s48                                   // 000000003F38: 807C30FF 00000200
	v_mfma_f32_16x16x32_fp8_fp8 v[100:103], a[176:177], a[96:97], v[100:103]// 000000003F40: D3F30064 1D92C1B0
	v_mfma_f32_16x16x32_fp8_fp8 v[100:103], a[178:179], a[98:99], v[100:103]// 000000003F48: D3F30064 1D92C5B2
	buffer_load_dword v72, s[20:23], 0 offen lds               // 000000003F50: E0511000 80050048
	s_add_u32 m0, 0x300, s48                                   // 000000003F58: 807C30FF 00000300
	v_mfma_f32_16x16x32_fp8_fp8 v[100:103], a[180:181], a[100:101], v[100:103]// 000000003F60: D3F30064 1D92C9B4
	v_mfma_f32_16x16x32_fp8_fp8 v[100:103], a[182:183], a[102:103], v[100:103]// 000000003F68: D3F30064 1D92CDB6
	buffer_load_dword v73, s[20:23], 0 offen lds               // 000000003F70: E0511000 80050049
	s_add_u32 m0, 0x400, s48                                   // 000000003F78: 807C30FF 00000400
	v_mfma_f32_16x16x32_fp8_fp8 v[104:107], a[176:177], a[104:105], v[104:107]// 000000003F80: D3F30068 1DA2D1B0
	v_mfma_f32_16x16x32_fp8_fp8 v[104:107], a[178:179], a[106:107], v[104:107]// 000000003F88: D3F30068 1DA2D5B2
	buffer_load_dword v74, s[20:23], 0 offen lds               // 000000003F90: E0511000 8005004A
	s_add_u32 m0, 0x500, s48                                   // 000000003F98: 807C30FF 00000500
	v_mfma_f32_16x16x32_fp8_fp8 v[104:107], a[180:181], a[108:109], v[104:107]// 000000003FA0: D3F30068 1DA2D9B4
	v_mfma_f32_16x16x32_fp8_fp8 v[104:107], a[182:183], a[110:111], v[104:107]// 000000003FA8: D3F30068 1DA2DDB6
	buffer_load_dword v75, s[20:23], 0 offen lds               // 000000003FB0: E0511000 8005004B
	s_add_u32 m0, 0x600, s48                                   // 000000003FB8: 807C30FF 00000600
	v_mfma_f32_16x16x32_fp8_fp8 v[108:111], a[176:177], a[112:113], v[108:111]// 000000003FC0: D3F3006C 1DB2E1B0
	v_mfma_f32_16x16x32_fp8_fp8 v[108:111], a[178:179], a[114:115], v[108:111]// 000000003FC8: D3F3006C 1DB2E5B2
	buffer_load_dword v76, s[20:23], 0 offen lds               // 000000003FD0: E0511000 8005004C
	s_add_u32 m0, 0x700, s48                                   // 000000003FD8: 807C30FF 00000700
	v_mfma_f32_16x16x32_fp8_fp8 v[108:111], a[180:181], a[116:117], v[108:111]// 000000003FE0: D3F3006C 1DB2E9B4
	v_mfma_f32_16x16x32_fp8_fp8 v[108:111], a[182:183], a[118:119], v[108:111]// 000000003FE8: D3F3006C 1DB2EDB6
	buffer_load_dword v77, s[20:23], 0 offen lds               // 000000003FF0: E0511000 8005004D
	s_add_u32 m0, 0x800, s48                                   // 000000003FF8: 807C30FF 00000800
	v_mfma_f32_16x16x32_fp8_fp8 v[112:115], a[176:177], a[120:121], v[112:115]// 000000004000: D3F30070 1DC2F1B0
	v_mfma_f32_16x16x32_fp8_fp8 v[112:115], a[178:179], a[122:123], v[112:115]// 000000004008: D3F30070 1DC2F5B2
	buffer_load_dword v78, s[20:23], 0 offen lds               // 000000004010: E0511000 8005004E
	s_add_u32 m0, 0x900, s48                                   // 000000004018: 807C30FF 00000900
	v_mfma_f32_16x16x32_fp8_fp8 v[112:115], a[180:181], a[124:125], v[112:115]// 000000004020: D3F30070 1DC2F9B4
	v_mfma_f32_16x16x32_fp8_fp8 v[112:115], a[182:183], a[126:127], v[112:115]// 000000004028: D3F30070 1DC2FDB6
	buffer_load_dword v79, s[20:23], 0 offen lds               // 000000004030: E0511000 8005004F
	s_add_u32 m0, 0xa00, s48                                   // 000000004038: 807C30FF 00000A00
	v_mfma_f32_16x16x32_fp8_fp8 v[116:119], a[176:177], a[128:129], v[116:119]// 000000004040: D3F30074 1DD301B0
	v_mfma_f32_16x16x32_fp8_fp8 v[116:119], a[178:179], a[130:131], v[116:119]// 000000004048: D3F30074 1DD305B2
	buffer_load_dword v80, s[20:23], 0 offen lds               // 000000004050: E0511000 80050050
	s_add_u32 m0, 0xb00, s48                                   // 000000004058: 807C30FF 00000B00
	v_mfma_f32_16x16x32_fp8_fp8 v[116:119], a[180:181], a[132:133], v[116:119]// 000000004060: D3F30074 1DD309B4
	v_mfma_f32_16x16x32_fp8_fp8 v[116:119], a[182:183], a[134:135], v[116:119]// 000000004068: D3F30074 1DD30DB6
	buffer_load_dword v81, s[20:23], 0 offen lds               // 000000004070: E0511000 80050051
	s_add_u32 m0, 0xc00, s48                                   // 000000004078: 807C30FF 00000C00
	v_mfma_f32_16x16x32_fp8_fp8 v[120:123], a[176:177], a[136:137], v[120:123]// 000000004080: D3F30078 1DE311B0
	v_mfma_f32_16x16x32_fp8_fp8 v[120:123], a[178:179], a[138:139], v[120:123]// 000000004088: D3F30078 1DE315B2
	buffer_load_dword v82, s[20:23], 0 offen lds               // 000000004090: E0511000 80050052
	s_add_u32 m0, 0xd00, s48                                   // 000000004098: 807C30FF 00000D00
	v_mfma_f32_16x16x32_fp8_fp8 v[120:123], a[180:181], a[140:141], v[120:123]// 0000000040A0: D3F30078 1DE319B4
	v_mfma_f32_16x16x32_fp8_fp8 v[120:123], a[182:183], a[142:143], v[120:123]// 0000000040A8: D3F30078 1DE31DB6
	buffer_load_dword v83, s[20:23], 0 offen lds               // 0000000040B0: E0511000 80050053
	s_add_u32 m0, 0xe00, s48                                   // 0000000040B8: 807C30FF 00000E00
	v_mfma_f32_16x16x32_fp8_fp8 v[124:127], a[176:177], a[144:145], v[124:127]// 0000000040C0: D3F3007C 1DF321B0
	v_mfma_f32_16x16x32_fp8_fp8 v[124:127], a[178:179], a[146:147], v[124:127]// 0000000040C8: D3F3007C 1DF325B2
	buffer_load_dword v84, s[20:23], 0 offen lds               // 0000000040D0: E0511000 80050054
	s_add_u32 m0, 0xf00, s48                                   // 0000000040D8: 807C30FF 00000F00
	v_mfma_f32_16x16x32_fp8_fp8 v[124:127], a[180:181], a[148:149], v[124:127]// 0000000040E0: D3F3007C 1DF329B4
	v_mfma_f32_16x16x32_fp8_fp8 v[124:127], a[182:183], a[150:151], v[124:127]// 0000000040E8: D3F3007C 1DF32DB6
	buffer_load_dword v85, s[20:23], 0 offen lds               // 0000000040F0: E0511000 80050055
	s_add_u32 m0, 0x1000, s48                                  // 0000000040F8: 807C30FF 00001000
	v_mfma_f32_16x16x32_fp8_fp8 v[128:131], a[176:177], a[152:153], v[128:131]// 000000004100: D3F30080 1E0331B0
	v_mfma_f32_16x16x32_fp8_fp8 v[128:131], a[178:179], a[154:155], v[128:131]// 000000004108: D3F30080 1E0335B2
	buffer_load_dword v86, s[20:23], 0 offen lds               // 000000004110: E0511000 80050056
	s_add_u32 m0, 0x1100, s48                                  // 000000004118: 807C30FF 00001100
	v_mfma_f32_16x16x32_fp8_fp8 v[128:131], a[180:181], a[156:157], v[128:131]// 000000004120: D3F30080 1E0339B4
	v_mfma_f32_16x16x32_fp8_fp8 v[128:131], a[182:183], a[158:159], v[128:131]// 000000004128: D3F30080 1E033DB6
	buffer_load_dword v87, s[20:23], 0 offen lds               // 000000004130: E0511000 80050057
	s_add_u32 m0, 0x1200, s48                                  // 000000004138: 807C30FF 00001200
	buffer_load_dword v88, s[20:23], 0 offen lds               // 000000004140: E0511000 80050058
	s_add_u32 m0, 0x1300, s48                                  // 000000004148: 807C30FF 00001300
	buffer_load_dword v89, s[20:23], 0 offen lds               // 000000004150: E0511000 80050059
	s_add_u32 m0, 0, s49                                       // 000000004158: 807C3180
	s_waitcnt vmcnt(22)                                        // 00000000415C: BF8C4F76
	s_barrier                                                  // 000000004160: BF8A0000
	v_mfma_f32_16x16x32_fp8_fp8 v[132:135], a[160:161], a[80:81], v[132:135]// 000000004164: D3F30084 1E12A1A0
	v_mfma_f32_16x16x32_fp8_fp8 v[132:135], a[162:163], a[82:83], v[132:135]// 00000000416C: D3F30084 1E12A5A2
	buffer_load_dwordx4 a[176:179], v90, s[84:87], 0 offen     // 000000004174: E05C1000 8095B05A
	v_mfma_f32_16x16x32_fp8_fp8 v[132:135], a[164:165], a[84:85], v[132:135]// 00000000417C: D3F30084 1E12A9A4
	v_mfma_f32_16x16x32_fp8_fp8 v[132:135], a[166:167], a[86:87], v[132:135]// 000000004184: D3F30084 1E12ADA6
	ds_read_b128 a[0:3], v2 offset:41216                       // 00000000418C: DBFEA100 00000002
	ds_read_b128 a[4:7], v2 offset:41280                       // 000000004194: DBFEA140 04000002
	v_mfma_f32_16x16x32_fp8_fp8 v[136:139], a[160:161], a[88:89], v[136:139]// 00000000419C: D3F30088 1E22B1A0
	v_mfma_f32_16x16x32_fp8_fp8 v[136:139], a[162:163], a[90:91], v[136:139]// 0000000041A4: D3F30088 1E22B5A2
	buffer_load_dwordx4 a[180:183], v90, s[84:87], 0 offen offset:1024// 0000000041AC: E05C1400 8095B45A
	v_mfma_f32_16x16x32_fp8_fp8 v[136:139], a[164:165], a[92:93], v[136:139]// 0000000041B4: D3F30088 1E22B9A4
	v_mfma_f32_16x16x32_fp8_fp8 v[136:139], a[166:167], a[94:95], v[136:139]// 0000000041BC: D3F30088 1E22BDA6
	ds_read_b128 a[8:11], v2 offset:41728                      // 0000000041C4: DBFEA300 08000002
	ds_read_b128 a[12:15], v2 offset:41792                     // 0000000041CC: DBFEA340 0C000002
	v_mfma_f32_16x16x32_fp8_fp8 v[140:143], a[160:161], a[96:97], v[140:143]// 0000000041D4: D3F3008C 1E32C1A0
	v_mfma_f32_16x16x32_fp8_fp8 v[140:143], a[162:163], a[98:99], v[140:143]// 0000000041DC: D3F3008C 1E32C5A2
	v_mfma_f32_16x16x32_fp8_fp8 v[140:143], a[164:165], a[100:101], v[140:143]// 0000000041E4: D3F3008C 1E32C9A4
	v_mfma_f32_16x16x32_fp8_fp8 v[140:143], a[166:167], a[102:103], v[140:143]// 0000000041EC: D3F3008C 1E32CDA6
	ds_read_b128 a[16:19], v2 offset:42240                     // 0000000041F4: DBFEA500 10000002
	ds_read_b128 a[20:23], v2 offset:42304                     // 0000000041FC: DBFEA540 14000002
	v_mfma_f32_16x16x32_fp8_fp8 v[144:147], a[160:161], a[104:105], v[144:147]// 000000004204: D3F30090 1E42D1A0
	v_mfma_f32_16x16x32_fp8_fp8 v[144:147], a[162:163], a[106:107], v[144:147]// 00000000420C: D3F30090 1E42D5A2
	v_mfma_f32_16x16x32_fp8_fp8 v[144:147], a[164:165], a[108:109], v[144:147]// 000000004214: D3F30090 1E42D9A4
	v_mfma_f32_16x16x32_fp8_fp8 v[144:147], a[166:167], a[110:111], v[144:147]// 00000000421C: D3F30090 1E42DDA6
	ds_read_b128 a[24:27], v2 offset:42752                     // 000000004224: DBFEA700 18000002
	ds_read_b128 a[28:31], v2 offset:42816                     // 00000000422C: DBFEA740 1C000002
	v_mfma_f32_16x16x32_fp8_fp8 v[148:151], a[160:161], a[112:113], v[148:151]// 000000004234: D3F30094 1E52E1A0
	v_mfma_f32_16x16x32_fp8_fp8 v[148:151], a[162:163], a[114:115], v[148:151]// 00000000423C: D3F30094 1E52E5A2
	v_mfma_f32_16x16x32_fp8_fp8 v[148:151], a[164:165], a[116:117], v[148:151]// 000000004244: D3F30094 1E52E9A4
	v_mfma_f32_16x16x32_fp8_fp8 v[148:151], a[166:167], a[118:119], v[148:151]// 00000000424C: D3F30094 1E52EDA6
	ds_read_b128 a[32:35], v2 offset:43264                     // 000000004254: DBFEA900 20000002
	ds_read_b128 a[36:39], v2 offset:43328                     // 00000000425C: DBFEA940 24000002
	v_mfma_f32_16x16x32_fp8_fp8 v[152:155], a[160:161], a[120:121], v[152:155]// 000000004264: D3F30098 1E62F1A0
	v_mfma_f32_16x16x32_fp8_fp8 v[152:155], a[162:163], a[122:123], v[152:155]// 00000000426C: D3F30098 1E62F5A2
	v_mfma_f32_16x16x32_fp8_fp8 v[152:155], a[164:165], a[124:125], v[152:155]// 000000004274: D3F30098 1E62F9A4
	v_mfma_f32_16x16x32_fp8_fp8 v[152:155], a[166:167], a[126:127], v[152:155]// 00000000427C: D3F30098 1E62FDA6
	ds_read_b128 a[40:43], v2 offset:43776                     // 000000004284: DBFEAB00 28000002
	ds_read_b128 a[44:47], v2 offset:43840                     // 00000000428C: DBFEAB40 2C000002
	v_mfma_f32_16x16x32_fp8_fp8 v[156:159], a[160:161], a[128:129], v[156:159]// 000000004294: D3F3009C 1E7301A0
	v_mfma_f32_16x16x32_fp8_fp8 v[156:159], a[162:163], a[130:131], v[156:159]// 00000000429C: D3F3009C 1E7305A2
	v_mfma_f32_16x16x32_fp8_fp8 v[156:159], a[164:165], a[132:133], v[156:159]// 0000000042A4: D3F3009C 1E7309A4
	v_mfma_f32_16x16x32_fp8_fp8 v[156:159], a[166:167], a[134:135], v[156:159]// 0000000042AC: D3F3009C 1E730DA6
	ds_read_b128 a[48:51], v2 offset:44288                     // 0000000042B4: DBFEAD00 30000002
	ds_read_b128 a[52:55], v2 offset:44352                     // 0000000042BC: DBFEAD40 34000002
	v_mfma_f32_16x16x32_fp8_fp8 v[160:163], a[160:161], a[136:137], v[160:163]// 0000000042C4: D3F300A0 1E8311A0
	v_mfma_f32_16x16x32_fp8_fp8 v[160:163], a[162:163], a[138:139], v[160:163]// 0000000042CC: D3F300A0 1E8315A2
	v_mfma_f32_16x16x32_fp8_fp8 v[160:163], a[164:165], a[140:141], v[160:163]// 0000000042D4: D3F300A0 1E8319A4
	v_mfma_f32_16x16x32_fp8_fp8 v[160:163], a[166:167], a[142:143], v[160:163]// 0000000042DC: D3F300A0 1E831DA6
	ds_read_b128 a[56:59], v2 offset:44800                     // 0000000042E4: DBFEAF00 38000002
	ds_read_b128 a[60:63], v2 offset:44864                     // 0000000042EC: DBFEAF40 3C000002
	v_mfma_f32_16x16x32_fp8_fp8 v[164:167], a[160:161], a[144:145], v[164:167]// 0000000042F4: D3F300A4 1E9321A0
	s_add_u32 s60, 0x180, s80                                  // 0000000042FC: 803C50FF 00000180
	s_cmp_lt_u32 s60, s81                                      // 000000004304: BF0A513C
	s_cselect_b32 s57, s57, 0                                  // 000000004308: 85398039
	v_mfma_f32_16x16x32_fp8_fp8 v[164:167], a[162:163], a[146:147], v[164:167]// 00000000430C: D3F300A4 1E9325A2
	s_add_u32 s60, 0x100, s80                                  // 000000004314: 803C50FF 00000100
	s_cmp_lt_u32 s60, s81                                      // 00000000431C: BF0A513C
	s_cselect_b32 s58, s58, 0                                  // 000000004320: 853A803A
	v_mfma_f32_16x16x32_fp8_fp8 v[164:167], a[164:165], a[148:149], v[164:167]// 000000004324: D3F300A4 1E9329A4
	s_add_u32 s60, 0x100, s80                                  // 00000000432C: 803C50FF 00000100
	s_cmp_lt_u32 s60, s81                                      // 000000004334: BF0A513C
	s_cselect_b32 s83, s83, 0                                  // 000000004338: 85538053
	v_mfma_f32_16x16x32_fp8_fp8 v[164:167], a[166:167], a[150:151], v[164:167]// 00000000433C: D3F300A4 1E932DA6
	ds_read_b128 a[64:67], v2 offset:45312                     // 000000004344: DBFEB100 40000002
	ds_read_b128 a[68:71], v2 offset:45376                     // 00000000434C: DBFEB140 44000002
	s_add_u32 s24, s58, s24                                    // 000000004354: 8018183A
	s_addc_u32 s25, 0, s25                                     // 000000004358: 82191980
	v_mfma_f32_16x16x32_fp8_fp8 v[168:171], a[160:161], a[152:153], v[168:171]// 00000000435C: D3F300A8 1EA331A0
	s_add_u32 s20, s57, s20                                    // 000000004364: 80141439
	s_addc_u32 s21, 0, s21                                     // 000000004368: 82151580
	v_mfma_f32_16x16x32_fp8_fp8 v[168:171], a[162:163], a[154:155], v[168:171]// 00000000436C: D3F300A8 1EA335A2
	s_add_u32 s84, s83, s84                                    // 000000004374: 80545453
	s_addc_u32 s85, 0, s85                                     // 000000004378: 82555580
	v_mfma_f32_16x16x32_fp8_fp8 v[168:171], a[164:165], a[156:157], v[168:171]// 00000000437C: D3F300A8 1EA339A4
	v_mfma_f32_16x16x32_fp8_fp8 v[168:171], a[166:167], a[158:159], v[168:171]// 000000004384: D3F300A8 1EA33DA6
	ds_read_b128 a[72:75], v2 offset:45824                     // 00000000438C: DBFEB300 48000002
	ds_read_b128 a[76:79], v2 offset:45888                     // 000000004394: DBFEB340 4C000002
	s_addk_i32 s80, 0x80                                       // 00000000439C: B7500080
	s_cmp_lt_i32 s80, s81                                      // 0000000043A0: BF045150
	s_cbranch_scc0 label_0B47                                  // 0000000043A4: BF8404DD
	s_waitcnt vmcnt(22) lgkmcnt(0)                             // 0000000043A8: BF8C4076
	v_mfma_f32_16x16x32_fp8_fp8 v[92:95], a[168:169], a[0:1], v[92:95]// 0000000043AC: D3F3005C 1D7201A8
	v_mfma_f32_16x16x32_fp8_fp8 v[92:95], a[170:171], a[2:3], v[92:95]// 0000000043B4: D3F3005C 1D7205AA
	buffer_load_dwordx4 a[160:163], v90, s[24:27], 0 offen     // 0000000043BC: E05C1000 8086A05A
	v_mfma_f32_16x16x32_fp8_fp8 v[92:95], a[172:173], a[4:5], v[92:95]// 0000000043C4: D3F3005C 1D7209AC
	v_mfma_f32_16x16x32_fp8_fp8 v[92:95], a[174:175], a[6:7], v[92:95]// 0000000043CC: D3F3005C 1D720DAE
	v_mfma_f32_16x16x32_fp8_fp8 v[96:99], a[168:169], a[8:9], v[96:99]// 0000000043D4: D3F30060 1D8211A8
	v_mfma_f32_16x16x32_fp8_fp8 v[96:99], a[170:171], a[10:11], v[96:99]// 0000000043DC: D3F30060 1D8215AA
	buffer_load_dwordx4 a[164:167], v90, s[24:27], 0 offen offset:1024// 0000000043E4: E05C1400 8086A45A
	buffer_load_dword v70, s[20:23], 0 offen lds               // 0000000043EC: E0511000 80050046
	s_add_u32 m0, 0x100, s49                                   // 0000000043F4: 807C31FF 00000100
	v_mfma_f32_16x16x32_fp8_fp8 v[96:99], a[172:173], a[12:13], v[96:99]// 0000000043FC: D3F30060 1D8219AC
	v_mfma_f32_16x16x32_fp8_fp8 v[96:99], a[174:175], a[14:15], v[96:99]// 000000004404: D3F30060 1D821DAE
	buffer_load_dword v71, s[20:23], 0 offen lds               // 00000000440C: E0511000 80050047
	s_add_u32 m0, 0x200, s49                                   // 000000004414: 807C31FF 00000200
	v_mfma_f32_16x16x32_fp8_fp8 v[100:103], a[168:169], a[16:17], v[100:103]// 00000000441C: D3F30064 1D9221A8
	v_mfma_f32_16x16x32_fp8_fp8 v[100:103], a[170:171], a[18:19], v[100:103]// 000000004424: D3F30064 1D9225AA
	buffer_load_dword v72, s[20:23], 0 offen lds               // 00000000442C: E0511000 80050048
	s_add_u32 m0, 0x300, s49                                   // 000000004434: 807C31FF 00000300
	v_mfma_f32_16x16x32_fp8_fp8 v[100:103], a[172:173], a[20:21], v[100:103]// 00000000443C: D3F30064 1D9229AC
	v_mfma_f32_16x16x32_fp8_fp8 v[100:103], a[174:175], a[22:23], v[100:103]// 000000004444: D3F30064 1D922DAE
	buffer_load_dword v73, s[20:23], 0 offen lds               // 00000000444C: E0511000 80050049
	s_add_u32 m0, 0x400, s49                                   // 000000004454: 807C31FF 00000400
	v_mfma_f32_16x16x32_fp8_fp8 v[104:107], a[168:169], a[24:25], v[104:107]// 00000000445C: D3F30068 1DA231A8
	v_mfma_f32_16x16x32_fp8_fp8 v[104:107], a[170:171], a[26:27], v[104:107]// 000000004464: D3F30068 1DA235AA
	buffer_load_dword v74, s[20:23], 0 offen lds               // 00000000446C: E0511000 8005004A
	s_add_u32 m0, 0x500, s49                                   // 000000004474: 807C31FF 00000500
	v_mfma_f32_16x16x32_fp8_fp8 v[104:107], a[172:173], a[28:29], v[104:107]// 00000000447C: D3F30068 1DA239AC
	v_mfma_f32_16x16x32_fp8_fp8 v[104:107], a[174:175], a[30:31], v[104:107]// 000000004484: D3F30068 1DA23DAE
	buffer_load_dword v75, s[20:23], 0 offen lds               // 00000000448C: E0511000 8005004B
	s_add_u32 m0, 0x600, s49                                   // 000000004494: 807C31FF 00000600
	v_mfma_f32_16x16x32_fp8_fp8 v[108:111], a[168:169], a[32:33], v[108:111]// 00000000449C: D3F3006C 1DB241A8
	v_mfma_f32_16x16x32_fp8_fp8 v[108:111], a[170:171], a[34:35], v[108:111]// 0000000044A4: D3F3006C 1DB245AA
	buffer_load_dword v76, s[20:23], 0 offen lds               // 0000000044AC: E0511000 8005004C
	s_add_u32 m0, 0x700, s49                                   // 0000000044B4: 807C31FF 00000700
	v_mfma_f32_16x16x32_fp8_fp8 v[108:111], a[172:173], a[36:37], v[108:111]// 0000000044BC: D3F3006C 1DB249AC
	v_mfma_f32_16x16x32_fp8_fp8 v[108:111], a[174:175], a[38:39], v[108:111]// 0000000044C4: D3F3006C 1DB24DAE
	buffer_load_dword v77, s[20:23], 0 offen lds               // 0000000044CC: E0511000 8005004D
	s_add_u32 m0, 0x800, s49                                   // 0000000044D4: 807C31FF 00000800
	v_mfma_f32_16x16x32_fp8_fp8 v[112:115], a[168:169], a[40:41], v[112:115]// 0000000044DC: D3F30070 1DC251A8
	v_mfma_f32_16x16x32_fp8_fp8 v[112:115], a[170:171], a[42:43], v[112:115]// 0000000044E4: D3F30070 1DC255AA
	buffer_load_dword v78, s[20:23], 0 offen lds               // 0000000044EC: E0511000 8005004E
	s_add_u32 m0, 0x900, s49                                   // 0000000044F4: 807C31FF 00000900
	v_mfma_f32_16x16x32_fp8_fp8 v[112:115], a[172:173], a[44:45], v[112:115]// 0000000044FC: D3F30070 1DC259AC
	v_mfma_f32_16x16x32_fp8_fp8 v[112:115], a[174:175], a[46:47], v[112:115]// 000000004504: D3F30070 1DC25DAE
	buffer_load_dword v79, s[20:23], 0 offen lds               // 00000000450C: E0511000 8005004F
	s_add_u32 m0, 0xa00, s49                                   // 000000004514: 807C31FF 00000A00
	v_mfma_f32_16x16x32_fp8_fp8 v[116:119], a[168:169], a[48:49], v[116:119]// 00000000451C: D3F30074 1DD261A8
	v_mfma_f32_16x16x32_fp8_fp8 v[116:119], a[170:171], a[50:51], v[116:119]// 000000004524: D3F30074 1DD265AA
	buffer_load_dword v80, s[20:23], 0 offen lds               // 00000000452C: E0511000 80050050
	s_add_u32 m0, 0xb00, s49                                   // 000000004534: 807C31FF 00000B00
	v_mfma_f32_16x16x32_fp8_fp8 v[116:119], a[172:173], a[52:53], v[116:119]// 00000000453C: D3F30074 1DD269AC
	v_mfma_f32_16x16x32_fp8_fp8 v[116:119], a[174:175], a[54:55], v[116:119]// 000000004544: D3F30074 1DD26DAE
	buffer_load_dword v81, s[20:23], 0 offen lds               // 00000000454C: E0511000 80050051
	s_add_u32 m0, 0xc00, s49                                   // 000000004554: 807C31FF 00000C00
	v_mfma_f32_16x16x32_fp8_fp8 v[120:123], a[168:169], a[56:57], v[120:123]// 00000000455C: D3F30078 1DE271A8
	v_mfma_f32_16x16x32_fp8_fp8 v[120:123], a[170:171], a[58:59], v[120:123]// 000000004564: D3F30078 1DE275AA
	buffer_load_dword v82, s[20:23], 0 offen lds               // 00000000456C: E0511000 80050052
	s_add_u32 m0, 0xd00, s49                                   // 000000004574: 807C31FF 00000D00
	v_mfma_f32_16x16x32_fp8_fp8 v[120:123], a[172:173], a[60:61], v[120:123]// 00000000457C: D3F30078 1DE279AC
	v_mfma_f32_16x16x32_fp8_fp8 v[120:123], a[174:175], a[62:63], v[120:123]// 000000004584: D3F30078 1DE27DAE
	buffer_load_dword v83, s[20:23], 0 offen lds               // 00000000458C: E0511000 80050053
	s_add_u32 m0, 0xe00, s49                                   // 000000004594: 807C31FF 00000E00
	v_mfma_f32_16x16x32_fp8_fp8 v[124:127], a[168:169], a[64:65], v[124:127]// 00000000459C: D3F3007C 1DF281A8
	v_mfma_f32_16x16x32_fp8_fp8 v[124:127], a[170:171], a[66:67], v[124:127]// 0000000045A4: D3F3007C 1DF285AA
	buffer_load_dword v84, s[20:23], 0 offen lds               // 0000000045AC: E0511000 80050054
	s_add_u32 m0, 0xf00, s49                                   // 0000000045B4: 807C31FF 00000F00
	v_mfma_f32_16x16x32_fp8_fp8 v[124:127], a[172:173], a[68:69], v[124:127]// 0000000045BC: D3F3007C 1DF289AC
	v_mfma_f32_16x16x32_fp8_fp8 v[124:127], a[174:175], a[70:71], v[124:127]// 0000000045C4: D3F3007C 1DF28DAE
	buffer_load_dword v85, s[20:23], 0 offen lds               // 0000000045CC: E0511000 80050055
	s_add_u32 m0, 0x1000, s49                                  // 0000000045D4: 807C31FF 00001000
	v_mfma_f32_16x16x32_fp8_fp8 v[128:131], a[168:169], a[72:73], v[128:131]// 0000000045DC: D3F30080 1E0291A8
	v_mfma_f32_16x16x32_fp8_fp8 v[128:131], a[170:171], a[74:75], v[128:131]// 0000000045E4: D3F30080 1E0295AA
	buffer_load_dword v86, s[20:23], 0 offen lds               // 0000000045EC: E0511000 80050056
	s_add_u32 m0, 0x1100, s49                                  // 0000000045F4: 807C31FF 00001100
	v_mfma_f32_16x16x32_fp8_fp8 v[128:131], a[172:173], a[76:77], v[128:131]// 0000000045FC: D3F30080 1E0299AC
	v_mfma_f32_16x16x32_fp8_fp8 v[128:131], a[174:175], a[78:79], v[128:131]// 000000004604: D3F30080 1E029DAE
	buffer_load_dword v87, s[20:23], 0 offen lds               // 00000000460C: E0511000 80050057
	s_add_u32 m0, 0x1200, s49                                  // 000000004614: 807C31FF 00001200
	buffer_load_dword v88, s[20:23], 0 offen lds               // 00000000461C: E0511000 80050058
	s_add_u32 m0, 0x1300, s49                                  // 000000004624: 807C31FF 00001300
	buffer_load_dword v89, s[20:23], 0 offen lds               // 00000000462C: E0511000 80050059
	s_add_u32 m0, 0, s50                                       // 000000004634: 807C3280
	s_waitcnt vmcnt(22)                                        // 000000004638: BF8C4F76
	s_barrier                                                  // 00000000463C: BF8A0000
	v_mfma_f32_16x16x32_fp8_fp8 v[132:135], a[176:177], a[0:1], v[132:135]// 000000004640: D3F30084 1E1201B0
	v_mfma_f32_16x16x32_fp8_fp8 v[132:135], a[178:179], a[2:3], v[132:135]// 000000004648: D3F30084 1E1205B2
	buffer_load_dwordx4 a[168:171], v90, s[84:87], 0 offen     // 000000004650: E05C1000 8095A85A
	v_mfma_f32_16x16x32_fp8_fp8 v[132:135], a[180:181], a[4:5], v[132:135]// 000000004658: D3F30084 1E1209B4
	v_mfma_f32_16x16x32_fp8_fp8 v[132:135], a[182:183], a[6:7], v[132:135]// 000000004660: D3F30084 1E120DB6
	ds_read_b128 a[80:83], v2                                  // 000000004668: DBFE0000 50000002
	ds_read_b128 a[84:87], v2 offset:64                        // 000000004670: DBFE0040 54000002
	v_mfma_f32_16x16x32_fp8_fp8 v[136:139], a[176:177], a[8:9], v[136:139]// 000000004678: D3F30088 1E2211B0
	v_mfma_f32_16x16x32_fp8_fp8 v[136:139], a[178:179], a[10:11], v[136:139]// 000000004680: D3F30088 1E2215B2
	buffer_load_dwordx4 a[172:175], v90, s[84:87], 0 offen offset:1024// 000000004688: E05C1400 8095AC5A
	v_mfma_f32_16x16x32_fp8_fp8 v[136:139], a[180:181], a[12:13], v[136:139]// 000000004690: D3F30088 1E2219B4
	v_mfma_f32_16x16x32_fp8_fp8 v[136:139], a[182:183], a[14:15], v[136:139]// 000000004698: D3F30088 1E221DB6
	ds_read_b128 a[88:91], v2 offset:512                       // 0000000046A0: DBFE0200 58000002
	ds_read_b128 a[92:95], v2 offset:576                       // 0000000046A8: DBFE0240 5C000002
	v_mfma_f32_16x16x32_fp8_fp8 v[140:143], a[176:177], a[16:17], v[140:143]// 0000000046B0: D3F3008C 1E3221B0
	v_mfma_f32_16x16x32_fp8_fp8 v[140:143], a[178:179], a[18:19], v[140:143]// 0000000046B8: D3F3008C 1E3225B2
	v_mfma_f32_16x16x32_fp8_fp8 v[140:143], a[180:181], a[20:21], v[140:143]// 0000000046C0: D3F3008C 1E3229B4
	v_mfma_f32_16x16x32_fp8_fp8 v[140:143], a[182:183], a[22:23], v[140:143]// 0000000046C8: D3F3008C 1E322DB6
	ds_read_b128 a[96:99], v2 offset:1024                      // 0000000046D0: DBFE0400 60000002
	ds_read_b128 a[100:103], v2 offset:1088                    // 0000000046D8: DBFE0440 64000002
	v_mfma_f32_16x16x32_fp8_fp8 v[144:147], a[176:177], a[24:25], v[144:147]// 0000000046E0: D3F30090 1E4231B0
	v_mfma_f32_16x16x32_fp8_fp8 v[144:147], a[178:179], a[26:27], v[144:147]// 0000000046E8: D3F30090 1E4235B2
	v_mfma_f32_16x16x32_fp8_fp8 v[144:147], a[180:181], a[28:29], v[144:147]// 0000000046F0: D3F30090 1E4239B4
	v_mfma_f32_16x16x32_fp8_fp8 v[144:147], a[182:183], a[30:31], v[144:147]// 0000000046F8: D3F30090 1E423DB6
	ds_read_b128 a[104:107], v2 offset:1536                    // 000000004700: DBFE0600 68000002
	ds_read_b128 a[108:111], v2 offset:1600                    // 000000004708: DBFE0640 6C000002
	v_mfma_f32_16x16x32_fp8_fp8 v[148:151], a[176:177], a[32:33], v[148:151]// 000000004710: D3F30094 1E5241B0
	v_mfma_f32_16x16x32_fp8_fp8 v[148:151], a[178:179], a[34:35], v[148:151]// 000000004718: D3F30094 1E5245B2
	v_mfma_f32_16x16x32_fp8_fp8 v[148:151], a[180:181], a[36:37], v[148:151]// 000000004720: D3F30094 1E5249B4
	v_mfma_f32_16x16x32_fp8_fp8 v[148:151], a[182:183], a[38:39], v[148:151]// 000000004728: D3F30094 1E524DB6
	ds_read_b128 a[112:115], v2 offset:2048                    // 000000004730: DBFE0800 70000002
	ds_read_b128 a[116:119], v2 offset:2112                    // 000000004738: DBFE0840 74000002
	v_mfma_f32_16x16x32_fp8_fp8 v[152:155], a[176:177], a[40:41], v[152:155]// 000000004740: D3F30098 1E6251B0
	v_mfma_f32_16x16x32_fp8_fp8 v[152:155], a[178:179], a[42:43], v[152:155]// 000000004748: D3F30098 1E6255B2
	v_mfma_f32_16x16x32_fp8_fp8 v[152:155], a[180:181], a[44:45], v[152:155]// 000000004750: D3F30098 1E6259B4
	v_mfma_f32_16x16x32_fp8_fp8 v[152:155], a[182:183], a[46:47], v[152:155]// 000000004758: D3F30098 1E625DB6
	ds_read_b128 a[120:123], v2 offset:2560                    // 000000004760: DBFE0A00 78000002
	ds_read_b128 a[124:127], v2 offset:2624                    // 000000004768: DBFE0A40 7C000002
	v_mfma_f32_16x16x32_fp8_fp8 v[156:159], a[176:177], a[48:49], v[156:159]// 000000004770: D3F3009C 1E7261B0
	v_mfma_f32_16x16x32_fp8_fp8 v[156:159], a[178:179], a[50:51], v[156:159]// 000000004778: D3F3009C 1E7265B2
	v_mfma_f32_16x16x32_fp8_fp8 v[156:159], a[180:181], a[52:53], v[156:159]// 000000004780: D3F3009C 1E7269B4
	v_mfma_f32_16x16x32_fp8_fp8 v[156:159], a[182:183], a[54:55], v[156:159]// 000000004788: D3F3009C 1E726DB6
	ds_read_b128 a[128:131], v2 offset:3072                    // 000000004790: DBFE0C00 80000002
	ds_read_b128 a[132:135], v2 offset:3136                    // 000000004798: DBFE0C40 84000002
	v_mfma_f32_16x16x32_fp8_fp8 v[160:163], a[176:177], a[56:57], v[160:163]// 0000000047A0: D3F300A0 1E8271B0
	v_mfma_f32_16x16x32_fp8_fp8 v[160:163], a[178:179], a[58:59], v[160:163]// 0000000047A8: D3F300A0 1E8275B2
	v_mfma_f32_16x16x32_fp8_fp8 v[160:163], a[180:181], a[60:61], v[160:163]// 0000000047B0: D3F300A0 1E8279B4
	v_mfma_f32_16x16x32_fp8_fp8 v[160:163], a[182:183], a[62:63], v[160:163]// 0000000047B8: D3F300A0 1E827DB6
	ds_read_b128 a[136:139], v2 offset:3584                    // 0000000047C0: DBFE0E00 88000002
	ds_read_b128 a[140:143], v2 offset:3648                    // 0000000047C8: DBFE0E40 8C000002
	v_mfma_f32_16x16x32_fp8_fp8 v[164:167], a[176:177], a[64:65], v[164:167]// 0000000047D0: D3F300A4 1E9281B0
	s_add_u32 s60, 0x180, s80                                  // 0000000047D8: 803C50FF 00000180
	s_cmp_lt_u32 s60, s81                                      // 0000000047E0: BF0A513C
	s_cselect_b32 s57, s57, 0                                  // 0000000047E4: 85398039
	v_mfma_f32_16x16x32_fp8_fp8 v[164:167], a[178:179], a[66:67], v[164:167]// 0000000047E8: D3F300A4 1E9285B2
	s_add_u32 s60, 0x100, s80                                  // 0000000047F0: 803C50FF 00000100
	s_cmp_lt_u32 s60, s81                                      // 0000000047F8: BF0A513C
	s_cselect_b32 s58, s58, 0                                  // 0000000047FC: 853A803A
	v_mfma_f32_16x16x32_fp8_fp8 v[164:167], a[180:181], a[68:69], v[164:167]// 000000004800: D3F300A4 1E9289B4
	s_add_u32 s60, 0x100, s80                                  // 000000004808: 803C50FF 00000100
	s_cmp_lt_u32 s60, s81                                      // 000000004810: BF0A513C
	s_cselect_b32 s83, s83, 0                                  // 000000004814: 85538053
	v_mfma_f32_16x16x32_fp8_fp8 v[164:167], a[182:183], a[70:71], v[164:167]// 000000004818: D3F300A4 1E928DB6
	ds_read_b128 a[144:147], v2 offset:4096                    // 000000004820: DBFE1000 90000002
	ds_read_b128 a[148:151], v2 offset:4160                    // 000000004828: DBFE1040 94000002
	s_add_u32 s24, s58, s24                                    // 000000004830: 8018183A
	s_addc_u32 s25, 0, s25                                     // 000000004834: 82191980
	v_mfma_f32_16x16x32_fp8_fp8 v[168:171], a[176:177], a[72:73], v[168:171]// 000000004838: D3F300A8 1EA291B0
	s_add_u32 s20, s57, s20                                    // 000000004840: 80141439
	s_addc_u32 s21, 0, s21                                     // 000000004844: 82151580
	v_mfma_f32_16x16x32_fp8_fp8 v[168:171], a[178:179], a[74:75], v[168:171]// 000000004848: D3F300A8 1EA295B2
	s_add_u32 s84, s83, s84                                    // 000000004850: 80545453
	s_addc_u32 s85, 0, s85                                     // 000000004854: 82555580
	v_mfma_f32_16x16x32_fp8_fp8 v[168:171], a[180:181], a[76:77], v[168:171]// 000000004858: D3F300A8 1EA299B4
	v_mfma_f32_16x16x32_fp8_fp8 v[168:171], a[182:183], a[78:79], v[168:171]// 000000004860: D3F300A8 1EA29DB6
	ds_read_b128 a[152:155], v2 offset:4608                    // 000000004868: DBFE1200 98000002
	ds_read_b128 a[156:159], v2 offset:4672                    // 000000004870: DBFE1240 9C000002
	s_addk_i32 s80, 0x80                                       // 000000004878: B7500080
	s_cmp_lt_i32 s80, s81                                      // 00000000487C: BF045150
	s_cbranch_scc0 label_0B47                                  // 000000004880: BF8403A6
	s_waitcnt vmcnt(22) lgkmcnt(0)                             // 000000004884: BF8C4076
	v_mfma_f32_16x16x32_fp8_fp8 v[92:95], a[160:161], a[80:81], v[92:95]// 000000004888: D3F3005C 1D72A1A0
	v_mfma_f32_16x16x32_fp8_fp8 v[92:95], a[162:163], a[82:83], v[92:95]// 000000004890: D3F3005C 1D72A5A2
	buffer_load_dwordx4 a[176:179], v90, s[24:27], 0 offen     // 000000004898: E05C1000 8086B05A
	v_mfma_f32_16x16x32_fp8_fp8 v[92:95], a[164:165], a[84:85], v[92:95]// 0000000048A0: D3F3005C 1D72A9A4
	v_mfma_f32_16x16x32_fp8_fp8 v[92:95], a[166:167], a[86:87], v[92:95]// 0000000048A8: D3F3005C 1D72ADA6
	v_mfma_f32_16x16x32_fp8_fp8 v[96:99], a[160:161], a[88:89], v[96:99]// 0000000048B0: D3F30060 1D82B1A0
	v_mfma_f32_16x16x32_fp8_fp8 v[96:99], a[162:163], a[90:91], v[96:99]// 0000000048B8: D3F30060 1D82B5A2
	buffer_load_dwordx4 a[180:183], v90, s[24:27], 0 offen offset:1024// 0000000048C0: E05C1400 8086B45A
	buffer_load_dword v70, s[20:23], 0 offen lds               // 0000000048C8: E0511000 80050046
	s_add_u32 m0, 0x100, s50                                   // 0000000048D0: 807C32FF 00000100
	v_mfma_f32_16x16x32_fp8_fp8 v[96:99], a[164:165], a[92:93], v[96:99]// 0000000048D8: D3F30060 1D82B9A4
	v_mfma_f32_16x16x32_fp8_fp8 v[96:99], a[166:167], a[94:95], v[96:99]// 0000000048E0: D3F30060 1D82BDA6
	buffer_load_dword v71, s[20:23], 0 offen lds               // 0000000048E8: E0511000 80050047
	s_add_u32 m0, 0x200, s50                                   // 0000000048F0: 807C32FF 00000200
	v_mfma_f32_16x16x32_fp8_fp8 v[100:103], a[160:161], a[96:97], v[100:103]// 0000000048F8: D3F30064 1D92C1A0
	v_mfma_f32_16x16x32_fp8_fp8 v[100:103], a[162:163], a[98:99], v[100:103]// 000000004900: D3F30064 1D92C5A2
	buffer_load_dword v72, s[20:23], 0 offen lds               // 000000004908: E0511000 80050048
	s_add_u32 m0, 0x300, s50                                   // 000000004910: 807C32FF 00000300
	v_mfma_f32_16x16x32_fp8_fp8 v[100:103], a[164:165], a[100:101], v[100:103]// 000000004918: D3F30064 1D92C9A4
	v_mfma_f32_16x16x32_fp8_fp8 v[100:103], a[166:167], a[102:103], v[100:103]// 000000004920: D3F30064 1D92CDA6
	buffer_load_dword v73, s[20:23], 0 offen lds               // 000000004928: E0511000 80050049
	s_add_u32 m0, 0x400, s50                                   // 000000004930: 807C32FF 00000400
	v_mfma_f32_16x16x32_fp8_fp8 v[104:107], a[160:161], a[104:105], v[104:107]// 000000004938: D3F30068 1DA2D1A0
	v_mfma_f32_16x16x32_fp8_fp8 v[104:107], a[162:163], a[106:107], v[104:107]// 000000004940: D3F30068 1DA2D5A2
	buffer_load_dword v74, s[20:23], 0 offen lds               // 000000004948: E0511000 8005004A
	s_add_u32 m0, 0x500, s50                                   // 000000004950: 807C32FF 00000500
	v_mfma_f32_16x16x32_fp8_fp8 v[104:107], a[164:165], a[108:109], v[104:107]// 000000004958: D3F30068 1DA2D9A4
	v_mfma_f32_16x16x32_fp8_fp8 v[104:107], a[166:167], a[110:111], v[104:107]// 000000004960: D3F30068 1DA2DDA6
	buffer_load_dword v75, s[20:23], 0 offen lds               // 000000004968: E0511000 8005004B
	s_add_u32 m0, 0x600, s50                                   // 000000004970: 807C32FF 00000600
	v_mfma_f32_16x16x32_fp8_fp8 v[108:111], a[160:161], a[112:113], v[108:111]// 000000004978: D3F3006C 1DB2E1A0
	v_mfma_f32_16x16x32_fp8_fp8 v[108:111], a[162:163], a[114:115], v[108:111]// 000000004980: D3F3006C 1DB2E5A2
	buffer_load_dword v76, s[20:23], 0 offen lds               // 000000004988: E0511000 8005004C
	s_add_u32 m0, 0x700, s50                                   // 000000004990: 807C32FF 00000700
	v_mfma_f32_16x16x32_fp8_fp8 v[108:111], a[164:165], a[116:117], v[108:111]// 000000004998: D3F3006C 1DB2E9A4
	v_mfma_f32_16x16x32_fp8_fp8 v[108:111], a[166:167], a[118:119], v[108:111]// 0000000049A0: D3F3006C 1DB2EDA6
	buffer_load_dword v77, s[20:23], 0 offen lds               // 0000000049A8: E0511000 8005004D
	s_add_u32 m0, 0x800, s50                                   // 0000000049B0: 807C32FF 00000800
	v_mfma_f32_16x16x32_fp8_fp8 v[112:115], a[160:161], a[120:121], v[112:115]// 0000000049B8: D3F30070 1DC2F1A0
	v_mfma_f32_16x16x32_fp8_fp8 v[112:115], a[162:163], a[122:123], v[112:115]// 0000000049C0: D3F30070 1DC2F5A2
	buffer_load_dword v78, s[20:23], 0 offen lds               // 0000000049C8: E0511000 8005004E
	s_add_u32 m0, 0x900, s50                                   // 0000000049D0: 807C32FF 00000900
	v_mfma_f32_16x16x32_fp8_fp8 v[112:115], a[164:165], a[124:125], v[112:115]// 0000000049D8: D3F30070 1DC2F9A4
	v_mfma_f32_16x16x32_fp8_fp8 v[112:115], a[166:167], a[126:127], v[112:115]// 0000000049E0: D3F30070 1DC2FDA6
	buffer_load_dword v79, s[20:23], 0 offen lds               // 0000000049E8: E0511000 8005004F
	s_add_u32 m0, 0xa00, s50                                   // 0000000049F0: 807C32FF 00000A00
	v_mfma_f32_16x16x32_fp8_fp8 v[116:119], a[160:161], a[128:129], v[116:119]// 0000000049F8: D3F30074 1DD301A0
	v_mfma_f32_16x16x32_fp8_fp8 v[116:119], a[162:163], a[130:131], v[116:119]// 000000004A00: D3F30074 1DD305A2
	buffer_load_dword v80, s[20:23], 0 offen lds               // 000000004A08: E0511000 80050050
	s_add_u32 m0, 0xb00, s50                                   // 000000004A10: 807C32FF 00000B00
	v_mfma_f32_16x16x32_fp8_fp8 v[116:119], a[164:165], a[132:133], v[116:119]// 000000004A18: D3F30074 1DD309A4
	v_mfma_f32_16x16x32_fp8_fp8 v[116:119], a[166:167], a[134:135], v[116:119]// 000000004A20: D3F30074 1DD30DA6
	buffer_load_dword v81, s[20:23], 0 offen lds               // 000000004A28: E0511000 80050051
	s_add_u32 m0, 0xc00, s50                                   // 000000004A30: 807C32FF 00000C00
	v_mfma_f32_16x16x32_fp8_fp8 v[120:123], a[160:161], a[136:137], v[120:123]// 000000004A38: D3F30078 1DE311A0
	v_mfma_f32_16x16x32_fp8_fp8 v[120:123], a[162:163], a[138:139], v[120:123]// 000000004A40: D3F30078 1DE315A2
	buffer_load_dword v82, s[20:23], 0 offen lds               // 000000004A48: E0511000 80050052
	s_add_u32 m0, 0xd00, s50                                   // 000000004A50: 807C32FF 00000D00
	v_mfma_f32_16x16x32_fp8_fp8 v[120:123], a[164:165], a[140:141], v[120:123]// 000000004A58: D3F30078 1DE319A4
	v_mfma_f32_16x16x32_fp8_fp8 v[120:123], a[166:167], a[142:143], v[120:123]// 000000004A60: D3F30078 1DE31DA6
	buffer_load_dword v83, s[20:23], 0 offen lds               // 000000004A68: E0511000 80050053
	s_add_u32 m0, 0xe00, s50                                   // 000000004A70: 807C32FF 00000E00
	v_mfma_f32_16x16x32_fp8_fp8 v[124:127], a[160:161], a[144:145], v[124:127]// 000000004A78: D3F3007C 1DF321A0
	v_mfma_f32_16x16x32_fp8_fp8 v[124:127], a[162:163], a[146:147], v[124:127]// 000000004A80: D3F3007C 1DF325A2
	buffer_load_dword v84, s[20:23], 0 offen lds               // 000000004A88: E0511000 80050054
	s_add_u32 m0, 0xf00, s50                                   // 000000004A90: 807C32FF 00000F00
	v_mfma_f32_16x16x32_fp8_fp8 v[124:127], a[164:165], a[148:149], v[124:127]// 000000004A98: D3F3007C 1DF329A4
	v_mfma_f32_16x16x32_fp8_fp8 v[124:127], a[166:167], a[150:151], v[124:127]// 000000004AA0: D3F3007C 1DF32DA6
	buffer_load_dword v85, s[20:23], 0 offen lds               // 000000004AA8: E0511000 80050055
	s_add_u32 m0, 0x1000, s50                                  // 000000004AB0: 807C32FF 00001000
	v_mfma_f32_16x16x32_fp8_fp8 v[128:131], a[160:161], a[152:153], v[128:131]// 000000004AB8: D3F30080 1E0331A0
	v_mfma_f32_16x16x32_fp8_fp8 v[128:131], a[162:163], a[154:155], v[128:131]// 000000004AC0: D3F30080 1E0335A2
	buffer_load_dword v86, s[20:23], 0 offen lds               // 000000004AC8: E0511000 80050056
	s_add_u32 m0, 0x1100, s50                                  // 000000004AD0: 807C32FF 00001100
	v_mfma_f32_16x16x32_fp8_fp8 v[128:131], a[164:165], a[156:157], v[128:131]// 000000004AD8: D3F30080 1E0339A4
	v_mfma_f32_16x16x32_fp8_fp8 v[128:131], a[166:167], a[158:159], v[128:131]// 000000004AE0: D3F30080 1E033DA6
	buffer_load_dword v87, s[20:23], 0 offen lds               // 000000004AE8: E0511000 80050057
	s_add_u32 m0, 0x1200, s50                                  // 000000004AF0: 807C32FF 00001200
	buffer_load_dword v88, s[20:23], 0 offen lds               // 000000004AF8: E0511000 80050058
	s_add_u32 m0, 0x1300, s50                                  // 000000004B00: 807C32FF 00001300
	buffer_load_dword v89, s[20:23], 0 offen lds               // 000000004B08: E0511000 80050059
	s_add_u32 m0, 0, s48                                       // 000000004B10: 807C3080
	s_waitcnt vmcnt(22)                                        // 000000004B14: BF8C4F76
	s_barrier                                                  // 000000004B18: BF8A0000
	v_mfma_f32_16x16x32_fp8_fp8 v[132:135], a[168:169], a[80:81], v[132:135]// 000000004B1C: D3F30084 1E12A1A8
	v_mfma_f32_16x16x32_fp8_fp8 v[132:135], a[170:171], a[82:83], v[132:135]// 000000004B24: D3F30084 1E12A5AA
	buffer_load_dwordx4 a[160:163], v90, s[84:87], 0 offen     // 000000004B2C: E05C1000 8095A05A
	v_mfma_f32_16x16x32_fp8_fp8 v[132:135], a[172:173], a[84:85], v[132:135]// 000000004B34: D3F30084 1E12A9AC
	v_mfma_f32_16x16x32_fp8_fp8 v[132:135], a[174:175], a[86:87], v[132:135]// 000000004B3C: D3F30084 1E12ADAE
	ds_read_b128 a[0:3], v2 offset:20608                       // 000000004B44: DBFE5080 00000002
	ds_read_b128 a[4:7], v2 offset:20672                       // 000000004B4C: DBFE50C0 04000002
	v_mfma_f32_16x16x32_fp8_fp8 v[136:139], a[168:169], a[88:89], v[136:139]// 000000004B54: D3F30088 1E22B1A8
	v_mfma_f32_16x16x32_fp8_fp8 v[136:139], a[170:171], a[90:91], v[136:139]// 000000004B5C: D3F30088 1E22B5AA
	buffer_load_dwordx4 a[164:167], v90, s[84:87], 0 offen offset:1024// 000000004B64: E05C1400 8095A45A
	v_mfma_f32_16x16x32_fp8_fp8 v[136:139], a[172:173], a[92:93], v[136:139]// 000000004B6C: D3F30088 1E22B9AC
	v_mfma_f32_16x16x32_fp8_fp8 v[136:139], a[174:175], a[94:95], v[136:139]// 000000004B74: D3F30088 1E22BDAE
	ds_read_b128 a[8:11], v2 offset:21120                      // 000000004B7C: DBFE5280 08000002
	ds_read_b128 a[12:15], v2 offset:21184                     // 000000004B84: DBFE52C0 0C000002
	v_mfma_f32_16x16x32_fp8_fp8 v[140:143], a[168:169], a[96:97], v[140:143]// 000000004B8C: D3F3008C 1E32C1A8
	v_mfma_f32_16x16x32_fp8_fp8 v[140:143], a[170:171], a[98:99], v[140:143]// 000000004B94: D3F3008C 1E32C5AA
	v_mfma_f32_16x16x32_fp8_fp8 v[140:143], a[172:173], a[100:101], v[140:143]// 000000004B9C: D3F3008C 1E32C9AC
	v_mfma_f32_16x16x32_fp8_fp8 v[140:143], a[174:175], a[102:103], v[140:143]// 000000004BA4: D3F3008C 1E32CDAE
	ds_read_b128 a[16:19], v2 offset:21632                     // 000000004BAC: DBFE5480 10000002
	ds_read_b128 a[20:23], v2 offset:21696                     // 000000004BB4: DBFE54C0 14000002
	v_mfma_f32_16x16x32_fp8_fp8 v[144:147], a[168:169], a[104:105], v[144:147]// 000000004BBC: D3F30090 1E42D1A8
	v_mfma_f32_16x16x32_fp8_fp8 v[144:147], a[170:171], a[106:107], v[144:147]// 000000004BC4: D3F30090 1E42D5AA
	v_mfma_f32_16x16x32_fp8_fp8 v[144:147], a[172:173], a[108:109], v[144:147]// 000000004BCC: D3F30090 1E42D9AC
	v_mfma_f32_16x16x32_fp8_fp8 v[144:147], a[174:175], a[110:111], v[144:147]// 000000004BD4: D3F30090 1E42DDAE
	ds_read_b128 a[24:27], v2 offset:22144                     // 000000004BDC: DBFE5680 18000002
	ds_read_b128 a[28:31], v2 offset:22208                     // 000000004BE4: DBFE56C0 1C000002
	v_mfma_f32_16x16x32_fp8_fp8 v[148:151], a[168:169], a[112:113], v[148:151]// 000000004BEC: D3F30094 1E52E1A8
	v_mfma_f32_16x16x32_fp8_fp8 v[148:151], a[170:171], a[114:115], v[148:151]// 000000004BF4: D3F30094 1E52E5AA
	v_mfma_f32_16x16x32_fp8_fp8 v[148:151], a[172:173], a[116:117], v[148:151]// 000000004BFC: D3F30094 1E52E9AC
	v_mfma_f32_16x16x32_fp8_fp8 v[148:151], a[174:175], a[118:119], v[148:151]// 000000004C04: D3F30094 1E52EDAE
	ds_read_b128 a[32:35], v2 offset:22656                     // 000000004C0C: DBFE5880 20000002
	ds_read_b128 a[36:39], v2 offset:22720                     // 000000004C14: DBFE58C0 24000002
	v_mfma_f32_16x16x32_fp8_fp8 v[152:155], a[168:169], a[120:121], v[152:155]// 000000004C1C: D3F30098 1E62F1A8
	v_mfma_f32_16x16x32_fp8_fp8 v[152:155], a[170:171], a[122:123], v[152:155]// 000000004C24: D3F30098 1E62F5AA
	v_mfma_f32_16x16x32_fp8_fp8 v[152:155], a[172:173], a[124:125], v[152:155]// 000000004C2C: D3F30098 1E62F9AC
	v_mfma_f32_16x16x32_fp8_fp8 v[152:155], a[174:175], a[126:127], v[152:155]// 000000004C34: D3F30098 1E62FDAE
	ds_read_b128 a[40:43], v2 offset:23168                     // 000000004C3C: DBFE5A80 28000002
	ds_read_b128 a[44:47], v2 offset:23232                     // 000000004C44: DBFE5AC0 2C000002
	v_mfma_f32_16x16x32_fp8_fp8 v[156:159], a[168:169], a[128:129], v[156:159]// 000000004C4C: D3F3009C 1E7301A8
	v_mfma_f32_16x16x32_fp8_fp8 v[156:159], a[170:171], a[130:131], v[156:159]// 000000004C54: D3F3009C 1E7305AA
	v_mfma_f32_16x16x32_fp8_fp8 v[156:159], a[172:173], a[132:133], v[156:159]// 000000004C5C: D3F3009C 1E7309AC
	v_mfma_f32_16x16x32_fp8_fp8 v[156:159], a[174:175], a[134:135], v[156:159]// 000000004C64: D3F3009C 1E730DAE
	ds_read_b128 a[48:51], v2 offset:23680                     // 000000004C6C: DBFE5C80 30000002
	ds_read_b128 a[52:55], v2 offset:23744                     // 000000004C74: DBFE5CC0 34000002
	v_mfma_f32_16x16x32_fp8_fp8 v[160:163], a[168:169], a[136:137], v[160:163]// 000000004C7C: D3F300A0 1E8311A8
	v_mfma_f32_16x16x32_fp8_fp8 v[160:163], a[170:171], a[138:139], v[160:163]// 000000004C84: D3F300A0 1E8315AA
	v_mfma_f32_16x16x32_fp8_fp8 v[160:163], a[172:173], a[140:141], v[160:163]// 000000004C8C: D3F300A0 1E8319AC
	v_mfma_f32_16x16x32_fp8_fp8 v[160:163], a[174:175], a[142:143], v[160:163]// 000000004C94: D3F300A0 1E831DAE
	ds_read_b128 a[56:59], v2 offset:24192                     // 000000004C9C: DBFE5E80 38000002
	ds_read_b128 a[60:63], v2 offset:24256                     // 000000004CA4: DBFE5EC0 3C000002
	v_mfma_f32_16x16x32_fp8_fp8 v[164:167], a[168:169], a[144:145], v[164:167]// 000000004CAC: D3F300A4 1E9321A8
	s_add_u32 s60, 0x180, s80                                  // 000000004CB4: 803C50FF 00000180
	s_cmp_lt_u32 s60, s81                                      // 000000004CBC: BF0A513C
	s_cselect_b32 s57, s57, 0                                  // 000000004CC0: 85398039
	v_mfma_f32_16x16x32_fp8_fp8 v[164:167], a[170:171], a[146:147], v[164:167]// 000000004CC4: D3F300A4 1E9325AA
	s_add_u32 s60, 0x100, s80                                  // 000000004CCC: 803C50FF 00000100
	s_cmp_lt_u32 s60, s81                                      // 000000004CD4: BF0A513C
	s_cselect_b32 s58, s58, 0                                  // 000000004CD8: 853A803A
	v_mfma_f32_16x16x32_fp8_fp8 v[164:167], a[172:173], a[148:149], v[164:167]// 000000004CDC: D3F300A4 1E9329AC
	s_add_u32 s60, 0x100, s80                                  // 000000004CE4: 803C50FF 00000100
	s_cmp_lt_u32 s60, s81                                      // 000000004CEC: BF0A513C
	s_cselect_b32 s83, s83, 0                                  // 000000004CF0: 85538053
	v_mfma_f32_16x16x32_fp8_fp8 v[164:167], a[174:175], a[150:151], v[164:167]// 000000004CF4: D3F300A4 1E932DAE
	ds_read_b128 a[64:67], v2 offset:24704                     // 000000004CFC: DBFE6080 40000002
	ds_read_b128 a[68:71], v2 offset:24768                     // 000000004D04: DBFE60C0 44000002
	s_add_u32 s24, s58, s24                                    // 000000004D0C: 8018183A
	s_addc_u32 s25, 0, s25                                     // 000000004D10: 82191980
	v_mfma_f32_16x16x32_fp8_fp8 v[168:171], a[168:169], a[152:153], v[168:171]// 000000004D14: D3F300A8 1EA331A8
	s_add_u32 s20, s57, s20                                    // 000000004D1C: 80141439
	s_addc_u32 s21, 0, s21                                     // 000000004D20: 82151580
	v_mfma_f32_16x16x32_fp8_fp8 v[168:171], a[170:171], a[154:155], v[168:171]// 000000004D24: D3F300A8 1EA335AA
	s_add_u32 s84, s83, s84                                    // 000000004D2C: 80545453
	s_addc_u32 s85, 0, s85                                     // 000000004D30: 82555580
	v_mfma_f32_16x16x32_fp8_fp8 v[168:171], a[172:173], a[156:157], v[168:171]// 000000004D34: D3F300A8 1EA339AC
	v_mfma_f32_16x16x32_fp8_fp8 v[168:171], a[174:175], a[158:159], v[168:171]// 000000004D3C: D3F300A8 1EA33DAE
	ds_read_b128 a[72:75], v2 offset:25216                     // 000000004D44: DBFE6280 48000002
	ds_read_b128 a[76:79], v2 offset:25280                     // 000000004D4C: DBFE62C0 4C000002
	s_addk_i32 s80, 0x80                                       // 000000004D54: B7500080
	s_cmp_lt_i32 s80, s81                                      // 000000004D58: BF045150
	s_cbranch_scc0 label_0B47                                  // 000000004D5C: BF84026F
	s_waitcnt vmcnt(22) lgkmcnt(0)                             // 000000004D60: BF8C4076
	v_mfma_f32_16x16x32_fp8_fp8 v[92:95], a[176:177], a[0:1], v[92:95]// 000000004D64: D3F3005C 1D7201B0
	v_mfma_f32_16x16x32_fp8_fp8 v[92:95], a[178:179], a[2:3], v[92:95]// 000000004D6C: D3F3005C 1D7205B2
	buffer_load_dwordx4 a[168:171], v90, s[24:27], 0 offen     // 000000004D74: E05C1000 8086A85A
	v_mfma_f32_16x16x32_fp8_fp8 v[92:95], a[180:181], a[4:5], v[92:95]// 000000004D7C: D3F3005C 1D7209B4
	v_mfma_f32_16x16x32_fp8_fp8 v[92:95], a[182:183], a[6:7], v[92:95]// 000000004D84: D3F3005C 1D720DB6
	v_mfma_f32_16x16x32_fp8_fp8 v[96:99], a[176:177], a[8:9], v[96:99]// 000000004D8C: D3F30060 1D8211B0
	v_mfma_f32_16x16x32_fp8_fp8 v[96:99], a[178:179], a[10:11], v[96:99]// 000000004D94: D3F30060 1D8215B2
	buffer_load_dwordx4 a[172:175], v90, s[24:27], 0 offen offset:1024// 000000004D9C: E05C1400 8086AC5A
	buffer_load_dword v70, s[20:23], 0 offen lds               // 000000004DA4: E0511000 80050046
	s_add_u32 m0, 0x100, s48                                   // 000000004DAC: 807C30FF 00000100
	v_mfma_f32_16x16x32_fp8_fp8 v[96:99], a[180:181], a[12:13], v[96:99]// 000000004DB4: D3F30060 1D8219B4
	v_mfma_f32_16x16x32_fp8_fp8 v[96:99], a[182:183], a[14:15], v[96:99]// 000000004DBC: D3F30060 1D821DB6
	buffer_load_dword v71, s[20:23], 0 offen lds               // 000000004DC4: E0511000 80050047
	s_add_u32 m0, 0x200, s48                                   // 000000004DCC: 807C30FF 00000200
	v_mfma_f32_16x16x32_fp8_fp8 v[100:103], a[176:177], a[16:17], v[100:103]// 000000004DD4: D3F30064 1D9221B0
	v_mfma_f32_16x16x32_fp8_fp8 v[100:103], a[178:179], a[18:19], v[100:103]// 000000004DDC: D3F30064 1D9225B2
	buffer_load_dword v72, s[20:23], 0 offen lds               // 000000004DE4: E0511000 80050048
	s_add_u32 m0, 0x300, s48                                   // 000000004DEC: 807C30FF 00000300
	v_mfma_f32_16x16x32_fp8_fp8 v[100:103], a[180:181], a[20:21], v[100:103]// 000000004DF4: D3F30064 1D9229B4
	v_mfma_f32_16x16x32_fp8_fp8 v[100:103], a[182:183], a[22:23], v[100:103]// 000000004DFC: D3F30064 1D922DB6
	buffer_load_dword v73, s[20:23], 0 offen lds               // 000000004E04: E0511000 80050049
	s_add_u32 m0, 0x400, s48                                   // 000000004E0C: 807C30FF 00000400
	v_mfma_f32_16x16x32_fp8_fp8 v[104:107], a[176:177], a[24:25], v[104:107]// 000000004E14: D3F30068 1DA231B0
	v_mfma_f32_16x16x32_fp8_fp8 v[104:107], a[178:179], a[26:27], v[104:107]// 000000004E1C: D3F30068 1DA235B2
	buffer_load_dword v74, s[20:23], 0 offen lds               // 000000004E24: E0511000 8005004A
	s_add_u32 m0, 0x500, s48                                   // 000000004E2C: 807C30FF 00000500
	v_mfma_f32_16x16x32_fp8_fp8 v[104:107], a[180:181], a[28:29], v[104:107]// 000000004E34: D3F30068 1DA239B4
	v_mfma_f32_16x16x32_fp8_fp8 v[104:107], a[182:183], a[30:31], v[104:107]// 000000004E3C: D3F30068 1DA23DB6
	buffer_load_dword v75, s[20:23], 0 offen lds               // 000000004E44: E0511000 8005004B
	s_add_u32 m0, 0x600, s48                                   // 000000004E4C: 807C30FF 00000600
	v_mfma_f32_16x16x32_fp8_fp8 v[108:111], a[176:177], a[32:33], v[108:111]// 000000004E54: D3F3006C 1DB241B0
	v_mfma_f32_16x16x32_fp8_fp8 v[108:111], a[178:179], a[34:35], v[108:111]// 000000004E5C: D3F3006C 1DB245B2
	buffer_load_dword v76, s[20:23], 0 offen lds               // 000000004E64: E0511000 8005004C
	s_add_u32 m0, 0x700, s48                                   // 000000004E6C: 807C30FF 00000700
	v_mfma_f32_16x16x32_fp8_fp8 v[108:111], a[180:181], a[36:37], v[108:111]// 000000004E74: D3F3006C 1DB249B4
	v_mfma_f32_16x16x32_fp8_fp8 v[108:111], a[182:183], a[38:39], v[108:111]// 000000004E7C: D3F3006C 1DB24DB6
	buffer_load_dword v77, s[20:23], 0 offen lds               // 000000004E84: E0511000 8005004D
	s_add_u32 m0, 0x800, s48                                   // 000000004E8C: 807C30FF 00000800
	v_mfma_f32_16x16x32_fp8_fp8 v[112:115], a[176:177], a[40:41], v[112:115]// 000000004E94: D3F30070 1DC251B0
	v_mfma_f32_16x16x32_fp8_fp8 v[112:115], a[178:179], a[42:43], v[112:115]// 000000004E9C: D3F30070 1DC255B2
	buffer_load_dword v78, s[20:23], 0 offen lds               // 000000004EA4: E0511000 8005004E
	s_add_u32 m0, 0x900, s48                                   // 000000004EAC: 807C30FF 00000900
	v_mfma_f32_16x16x32_fp8_fp8 v[112:115], a[180:181], a[44:45], v[112:115]// 000000004EB4: D3F30070 1DC259B4
	v_mfma_f32_16x16x32_fp8_fp8 v[112:115], a[182:183], a[46:47], v[112:115]// 000000004EBC: D3F30070 1DC25DB6
	buffer_load_dword v79, s[20:23], 0 offen lds               // 000000004EC4: E0511000 8005004F
	s_add_u32 m0, 0xa00, s48                                   // 000000004ECC: 807C30FF 00000A00
	v_mfma_f32_16x16x32_fp8_fp8 v[116:119], a[176:177], a[48:49], v[116:119]// 000000004ED4: D3F30074 1DD261B0
	v_mfma_f32_16x16x32_fp8_fp8 v[116:119], a[178:179], a[50:51], v[116:119]// 000000004EDC: D3F30074 1DD265B2
	buffer_load_dword v80, s[20:23], 0 offen lds               // 000000004EE4: E0511000 80050050
	s_add_u32 m0, 0xb00, s48                                   // 000000004EEC: 807C30FF 00000B00
	v_mfma_f32_16x16x32_fp8_fp8 v[116:119], a[180:181], a[52:53], v[116:119]// 000000004EF4: D3F30074 1DD269B4
	v_mfma_f32_16x16x32_fp8_fp8 v[116:119], a[182:183], a[54:55], v[116:119]// 000000004EFC: D3F30074 1DD26DB6
	buffer_load_dword v81, s[20:23], 0 offen lds               // 000000004F04: E0511000 80050051
	s_add_u32 m0, 0xc00, s48                                   // 000000004F0C: 807C30FF 00000C00
	v_mfma_f32_16x16x32_fp8_fp8 v[120:123], a[176:177], a[56:57], v[120:123]// 000000004F14: D3F30078 1DE271B0
	v_mfma_f32_16x16x32_fp8_fp8 v[120:123], a[178:179], a[58:59], v[120:123]// 000000004F1C: D3F30078 1DE275B2
	buffer_load_dword v82, s[20:23], 0 offen lds               // 000000004F24: E0511000 80050052
	s_add_u32 m0, 0xd00, s48                                   // 000000004F2C: 807C30FF 00000D00
	v_mfma_f32_16x16x32_fp8_fp8 v[120:123], a[180:181], a[60:61], v[120:123]// 000000004F34: D3F30078 1DE279B4
	v_mfma_f32_16x16x32_fp8_fp8 v[120:123], a[182:183], a[62:63], v[120:123]// 000000004F3C: D3F30078 1DE27DB6
	buffer_load_dword v83, s[20:23], 0 offen lds               // 000000004F44: E0511000 80050053
	s_add_u32 m0, 0xe00, s48                                   // 000000004F4C: 807C30FF 00000E00
	v_mfma_f32_16x16x32_fp8_fp8 v[124:127], a[176:177], a[64:65], v[124:127]// 000000004F54: D3F3007C 1DF281B0
	v_mfma_f32_16x16x32_fp8_fp8 v[124:127], a[178:179], a[66:67], v[124:127]// 000000004F5C: D3F3007C 1DF285B2
	buffer_load_dword v84, s[20:23], 0 offen lds               // 000000004F64: E0511000 80050054
	s_add_u32 m0, 0xf00, s48                                   // 000000004F6C: 807C30FF 00000F00
	v_mfma_f32_16x16x32_fp8_fp8 v[124:127], a[180:181], a[68:69], v[124:127]// 000000004F74: D3F3007C 1DF289B4
	v_mfma_f32_16x16x32_fp8_fp8 v[124:127], a[182:183], a[70:71], v[124:127]// 000000004F7C: D3F3007C 1DF28DB6
	buffer_load_dword v85, s[20:23], 0 offen lds               // 000000004F84: E0511000 80050055
	s_add_u32 m0, 0x1000, s48                                  // 000000004F8C: 807C30FF 00001000
	v_mfma_f32_16x16x32_fp8_fp8 v[128:131], a[176:177], a[72:73], v[128:131]// 000000004F94: D3F30080 1E0291B0
	v_mfma_f32_16x16x32_fp8_fp8 v[128:131], a[178:179], a[74:75], v[128:131]// 000000004F9C: D3F30080 1E0295B2
	buffer_load_dword v86, s[20:23], 0 offen lds               // 000000004FA4: E0511000 80050056
	s_add_u32 m0, 0x1100, s48                                  // 000000004FAC: 807C30FF 00001100
	v_mfma_f32_16x16x32_fp8_fp8 v[128:131], a[180:181], a[76:77], v[128:131]// 000000004FB4: D3F30080 1E0299B4
	v_mfma_f32_16x16x32_fp8_fp8 v[128:131], a[182:183], a[78:79], v[128:131]// 000000004FBC: D3F30080 1E029DB6
	buffer_load_dword v87, s[20:23], 0 offen lds               // 000000004FC4: E0511000 80050057
	s_add_u32 m0, 0x1200, s48                                  // 000000004FCC: 807C30FF 00001200
	buffer_load_dword v88, s[20:23], 0 offen lds               // 000000004FD4: E0511000 80050058
	s_add_u32 m0, 0x1300, s48                                  // 000000004FDC: 807C30FF 00001300
	buffer_load_dword v89, s[20:23], 0 offen lds               // 000000004FE4: E0511000 80050059
	s_add_u32 m0, 0, s49                                       // 000000004FEC: 807C3180
	s_waitcnt vmcnt(22)                                        // 000000004FF0: BF8C4F76
	s_barrier                                                  // 000000004FF4: BF8A0000
	v_mfma_f32_16x16x32_fp8_fp8 v[132:135], a[160:161], a[0:1], v[132:135]// 000000004FF8: D3F30084 1E1201A0
	v_mfma_f32_16x16x32_fp8_fp8 v[132:135], a[162:163], a[2:3], v[132:135]// 000000005000: D3F30084 1E1205A2
	buffer_load_dwordx4 a[176:179], v90, s[84:87], 0 offen     // 000000005008: E05C1000 8095B05A
	v_mfma_f32_16x16x32_fp8_fp8 v[132:135], a[164:165], a[4:5], v[132:135]// 000000005010: D3F30084 1E1209A4
	v_mfma_f32_16x16x32_fp8_fp8 v[132:135], a[166:167], a[6:7], v[132:135]// 000000005018: D3F30084 1E120DA6
	ds_read_b128 a[80:83], v2 offset:41216                     // 000000005020: DBFEA100 50000002
	ds_read_b128 a[84:87], v2 offset:41280                     // 000000005028: DBFEA140 54000002
	v_mfma_f32_16x16x32_fp8_fp8 v[136:139], a[160:161], a[8:9], v[136:139]// 000000005030: D3F30088 1E2211A0
	v_mfma_f32_16x16x32_fp8_fp8 v[136:139], a[162:163], a[10:11], v[136:139]// 000000005038: D3F30088 1E2215A2
	buffer_load_dwordx4 a[180:183], v90, s[84:87], 0 offen offset:1024// 000000005040: E05C1400 8095B45A
	v_mfma_f32_16x16x32_fp8_fp8 v[136:139], a[164:165], a[12:13], v[136:139]// 000000005048: D3F30088 1E2219A4
	v_mfma_f32_16x16x32_fp8_fp8 v[136:139], a[166:167], a[14:15], v[136:139]// 000000005050: D3F30088 1E221DA6
	ds_read_b128 a[88:91], v2 offset:41728                     // 000000005058: DBFEA300 58000002
	ds_read_b128 a[92:95], v2 offset:41792                     // 000000005060: DBFEA340 5C000002
	v_mfma_f32_16x16x32_fp8_fp8 v[140:143], a[160:161], a[16:17], v[140:143]// 000000005068: D3F3008C 1E3221A0
	v_mfma_f32_16x16x32_fp8_fp8 v[140:143], a[162:163], a[18:19], v[140:143]// 000000005070: D3F3008C 1E3225A2
	v_mfma_f32_16x16x32_fp8_fp8 v[140:143], a[164:165], a[20:21], v[140:143]// 000000005078: D3F3008C 1E3229A4
	v_mfma_f32_16x16x32_fp8_fp8 v[140:143], a[166:167], a[22:23], v[140:143]// 000000005080: D3F3008C 1E322DA6
	ds_read_b128 a[96:99], v2 offset:42240                     // 000000005088: DBFEA500 60000002
	ds_read_b128 a[100:103], v2 offset:42304                   // 000000005090: DBFEA540 64000002
	v_mfma_f32_16x16x32_fp8_fp8 v[144:147], a[160:161], a[24:25], v[144:147]// 000000005098: D3F30090 1E4231A0
	v_mfma_f32_16x16x32_fp8_fp8 v[144:147], a[162:163], a[26:27], v[144:147]// 0000000050A0: D3F30090 1E4235A2
	v_mfma_f32_16x16x32_fp8_fp8 v[144:147], a[164:165], a[28:29], v[144:147]// 0000000050A8: D3F30090 1E4239A4
	v_mfma_f32_16x16x32_fp8_fp8 v[144:147], a[166:167], a[30:31], v[144:147]// 0000000050B0: D3F30090 1E423DA6
	ds_read_b128 a[104:107], v2 offset:42752                   // 0000000050B8: DBFEA700 68000002
	ds_read_b128 a[108:111], v2 offset:42816                   // 0000000050C0: DBFEA740 6C000002
	v_mfma_f32_16x16x32_fp8_fp8 v[148:151], a[160:161], a[32:33], v[148:151]// 0000000050C8: D3F30094 1E5241A0
	v_mfma_f32_16x16x32_fp8_fp8 v[148:151], a[162:163], a[34:35], v[148:151]// 0000000050D0: D3F30094 1E5245A2
	v_mfma_f32_16x16x32_fp8_fp8 v[148:151], a[164:165], a[36:37], v[148:151]// 0000000050D8: D3F30094 1E5249A4
	v_mfma_f32_16x16x32_fp8_fp8 v[148:151], a[166:167], a[38:39], v[148:151]// 0000000050E0: D3F30094 1E524DA6
	ds_read_b128 a[112:115], v2 offset:43264                   // 0000000050E8: DBFEA900 70000002
	ds_read_b128 a[116:119], v2 offset:43328                   // 0000000050F0: DBFEA940 74000002
	v_mfma_f32_16x16x32_fp8_fp8 v[152:155], a[160:161], a[40:41], v[152:155]// 0000000050F8: D3F30098 1E6251A0
	v_mfma_f32_16x16x32_fp8_fp8 v[152:155], a[162:163], a[42:43], v[152:155]// 000000005100: D3F30098 1E6255A2
	v_mfma_f32_16x16x32_fp8_fp8 v[152:155], a[164:165], a[44:45], v[152:155]// 000000005108: D3F30098 1E6259A4
	v_mfma_f32_16x16x32_fp8_fp8 v[152:155], a[166:167], a[46:47], v[152:155]// 000000005110: D3F30098 1E625DA6
	ds_read_b128 a[120:123], v2 offset:43776                   // 000000005118: DBFEAB00 78000002
	ds_read_b128 a[124:127], v2 offset:43840                   // 000000005120: DBFEAB40 7C000002
	v_mfma_f32_16x16x32_fp8_fp8 v[156:159], a[160:161], a[48:49], v[156:159]// 000000005128: D3F3009C 1E7261A0
	v_mfma_f32_16x16x32_fp8_fp8 v[156:159], a[162:163], a[50:51], v[156:159]// 000000005130: D3F3009C 1E7265A2
	v_mfma_f32_16x16x32_fp8_fp8 v[156:159], a[164:165], a[52:53], v[156:159]// 000000005138: D3F3009C 1E7269A4
	v_mfma_f32_16x16x32_fp8_fp8 v[156:159], a[166:167], a[54:55], v[156:159]// 000000005140: D3F3009C 1E726DA6
	ds_read_b128 a[128:131], v2 offset:44288                   // 000000005148: DBFEAD00 80000002
	ds_read_b128 a[132:135], v2 offset:44352                   // 000000005150: DBFEAD40 84000002
	v_mfma_f32_16x16x32_fp8_fp8 v[160:163], a[160:161], a[56:57], v[160:163]// 000000005158: D3F300A0 1E8271A0
	v_mfma_f32_16x16x32_fp8_fp8 v[160:163], a[162:163], a[58:59], v[160:163]// 000000005160: D3F300A0 1E8275A2
	v_mfma_f32_16x16x32_fp8_fp8 v[160:163], a[164:165], a[60:61], v[160:163]// 000000005168: D3F300A0 1E8279A4
	v_mfma_f32_16x16x32_fp8_fp8 v[160:163], a[166:167], a[62:63], v[160:163]// 000000005170: D3F300A0 1E827DA6
	ds_read_b128 a[136:139], v2 offset:44800                   // 000000005178: DBFEAF00 88000002
	ds_read_b128 a[140:143], v2 offset:44864                   // 000000005180: DBFEAF40 8C000002
	v_mfma_f32_16x16x32_fp8_fp8 v[164:167], a[160:161], a[64:65], v[164:167]// 000000005188: D3F300A4 1E9281A0
	s_add_u32 s60, 0x180, s80                                  // 000000005190: 803C50FF 00000180
	s_cmp_lt_u32 s60, s81                                      // 000000005198: BF0A513C
	s_cselect_b32 s57, s57, 0                                  // 00000000519C: 85398039
	v_mfma_f32_16x16x32_fp8_fp8 v[164:167], a[162:163], a[66:67], v[164:167]// 0000000051A0: D3F300A4 1E9285A2
	s_add_u32 s60, 0x100, s80                                  // 0000000051A8: 803C50FF 00000100
	s_cmp_lt_u32 s60, s81                                      // 0000000051B0: BF0A513C
	s_cselect_b32 s58, s58, 0                                  // 0000000051B4: 853A803A
	v_mfma_f32_16x16x32_fp8_fp8 v[164:167], a[164:165], a[68:69], v[164:167]// 0000000051B8: D3F300A4 1E9289A4
	s_add_u32 s60, 0x100, s80                                  // 0000000051C0: 803C50FF 00000100
	s_cmp_lt_u32 s60, s81                                      // 0000000051C8: BF0A513C
	s_cselect_b32 s83, s83, 0                                  // 0000000051CC: 85538053
	v_mfma_f32_16x16x32_fp8_fp8 v[164:167], a[166:167], a[70:71], v[164:167]// 0000000051D0: D3F300A4 1E928DA6
	ds_read_b128 a[144:147], v2 offset:45312                   // 0000000051D8: DBFEB100 90000002
	ds_read_b128 a[148:151], v2 offset:45376                   // 0000000051E0: DBFEB140 94000002
	s_add_u32 s24, s58, s24                                    // 0000000051E8: 8018183A
	s_addc_u32 s25, 0, s25                                     // 0000000051EC: 82191980
	v_mfma_f32_16x16x32_fp8_fp8 v[168:171], a[160:161], a[72:73], v[168:171]// 0000000051F0: D3F300A8 1EA291A0
	s_add_u32 s20, s57, s20                                    // 0000000051F8: 80141439
	s_addc_u32 s21, 0, s21                                     // 0000000051FC: 82151580
	v_mfma_f32_16x16x32_fp8_fp8 v[168:171], a[162:163], a[74:75], v[168:171]// 000000005200: D3F300A8 1EA295A2
	s_add_u32 s84, s83, s84                                    // 000000005208: 80545453
	s_addc_u32 s85, 0, s85                                     // 00000000520C: 82555580
	v_mfma_f32_16x16x32_fp8_fp8 v[168:171], a[164:165], a[76:77], v[168:171]// 000000005210: D3F300A8 1EA299A4
	v_mfma_f32_16x16x32_fp8_fp8 v[168:171], a[166:167], a[78:79], v[168:171]// 000000005218: D3F300A8 1EA29DA6
	ds_read_b128 a[152:155], v2 offset:45824                   // 000000005220: DBFEB300 98000002
	ds_read_b128 a[156:159], v2 offset:45888                   // 000000005228: DBFEB340 9C000002
	s_addk_i32 s80, 0x80                                       // 000000005230: B7500080
	s_cmp_lt_i32 s80, s81                                      // 000000005234: BF045150
	s_cbranch_scc0 label_0B47                                  // 000000005238: BF840138
	s_waitcnt vmcnt(22) lgkmcnt(0)                             // 00000000523C: BF8C4076
	v_mfma_f32_16x16x32_fp8_fp8 v[92:95], a[168:169], a[80:81], v[92:95]// 000000005240: D3F3005C 1D72A1A8
	v_mfma_f32_16x16x32_fp8_fp8 v[92:95], a[170:171], a[82:83], v[92:95]// 000000005248: D3F3005C 1D72A5AA
	buffer_load_dwordx4 a[160:163], v90, s[24:27], 0 offen     // 000000005250: E05C1000 8086A05A
	v_mfma_f32_16x16x32_fp8_fp8 v[92:95], a[172:173], a[84:85], v[92:95]// 000000005258: D3F3005C 1D72A9AC
	v_mfma_f32_16x16x32_fp8_fp8 v[92:95], a[174:175], a[86:87], v[92:95]// 000000005260: D3F3005C 1D72ADAE
	v_mfma_f32_16x16x32_fp8_fp8 v[96:99], a[168:169], a[88:89], v[96:99]// 000000005268: D3F30060 1D82B1A8
	v_mfma_f32_16x16x32_fp8_fp8 v[96:99], a[170:171], a[90:91], v[96:99]// 000000005270: D3F30060 1D82B5AA
	buffer_load_dwordx4 a[164:167], v90, s[24:27], 0 offen offset:1024// 000000005278: E05C1400 8086A45A
	buffer_load_dword v70, s[20:23], 0 offen lds               // 000000005280: E0511000 80050046
	s_add_u32 m0, 0x100, s49                                   // 000000005288: 807C31FF 00000100
	v_mfma_f32_16x16x32_fp8_fp8 v[96:99], a[172:173], a[92:93], v[96:99]// 000000005290: D3F30060 1D82B9AC
	v_mfma_f32_16x16x32_fp8_fp8 v[96:99], a[174:175], a[94:95], v[96:99]// 000000005298: D3F30060 1D82BDAE
	buffer_load_dword v71, s[20:23], 0 offen lds               // 0000000052A0: E0511000 80050047
	s_add_u32 m0, 0x200, s49                                   // 0000000052A8: 807C31FF 00000200
	v_mfma_f32_16x16x32_fp8_fp8 v[100:103], a[168:169], a[96:97], v[100:103]// 0000000052B0: D3F30064 1D92C1A8
	v_mfma_f32_16x16x32_fp8_fp8 v[100:103], a[170:171], a[98:99], v[100:103]// 0000000052B8: D3F30064 1D92C5AA
	buffer_load_dword v72, s[20:23], 0 offen lds               // 0000000052C0: E0511000 80050048
	s_add_u32 m0, 0x300, s49                                   // 0000000052C8: 807C31FF 00000300
	v_mfma_f32_16x16x32_fp8_fp8 v[100:103], a[172:173], a[100:101], v[100:103]// 0000000052D0: D3F30064 1D92C9AC
	v_mfma_f32_16x16x32_fp8_fp8 v[100:103], a[174:175], a[102:103], v[100:103]// 0000000052D8: D3F30064 1D92CDAE
	buffer_load_dword v73, s[20:23], 0 offen lds               // 0000000052E0: E0511000 80050049
	s_add_u32 m0, 0x400, s49                                   // 0000000052E8: 807C31FF 00000400
	v_mfma_f32_16x16x32_fp8_fp8 v[104:107], a[168:169], a[104:105], v[104:107]// 0000000052F0: D3F30068 1DA2D1A8
	v_mfma_f32_16x16x32_fp8_fp8 v[104:107], a[170:171], a[106:107], v[104:107]// 0000000052F8: D3F30068 1DA2D5AA
	buffer_load_dword v74, s[20:23], 0 offen lds               // 000000005300: E0511000 8005004A
	s_add_u32 m0, 0x500, s49                                   // 000000005308: 807C31FF 00000500
	v_mfma_f32_16x16x32_fp8_fp8 v[104:107], a[172:173], a[108:109], v[104:107]// 000000005310: D3F30068 1DA2D9AC
	v_mfma_f32_16x16x32_fp8_fp8 v[104:107], a[174:175], a[110:111], v[104:107]// 000000005318: D3F30068 1DA2DDAE
	buffer_load_dword v75, s[20:23], 0 offen lds               // 000000005320: E0511000 8005004B
	s_add_u32 m0, 0x600, s49                                   // 000000005328: 807C31FF 00000600
	v_mfma_f32_16x16x32_fp8_fp8 v[108:111], a[168:169], a[112:113], v[108:111]// 000000005330: D3F3006C 1DB2E1A8
	v_mfma_f32_16x16x32_fp8_fp8 v[108:111], a[170:171], a[114:115], v[108:111]// 000000005338: D3F3006C 1DB2E5AA
	buffer_load_dword v76, s[20:23], 0 offen lds               // 000000005340: E0511000 8005004C
	s_add_u32 m0, 0x700, s49                                   // 000000005348: 807C31FF 00000700
	v_mfma_f32_16x16x32_fp8_fp8 v[108:111], a[172:173], a[116:117], v[108:111]// 000000005350: D3F3006C 1DB2E9AC
	v_mfma_f32_16x16x32_fp8_fp8 v[108:111], a[174:175], a[118:119], v[108:111]// 000000005358: D3F3006C 1DB2EDAE
	buffer_load_dword v77, s[20:23], 0 offen lds               // 000000005360: E0511000 8005004D
	s_add_u32 m0, 0x800, s49                                   // 000000005368: 807C31FF 00000800
	v_mfma_f32_16x16x32_fp8_fp8 v[112:115], a[168:169], a[120:121], v[112:115]// 000000005370: D3F30070 1DC2F1A8
	v_mfma_f32_16x16x32_fp8_fp8 v[112:115], a[170:171], a[122:123], v[112:115]// 000000005378: D3F30070 1DC2F5AA
	buffer_load_dword v78, s[20:23], 0 offen lds               // 000000005380: E0511000 8005004E
	s_add_u32 m0, 0x900, s49                                   // 000000005388: 807C31FF 00000900
	v_mfma_f32_16x16x32_fp8_fp8 v[112:115], a[172:173], a[124:125], v[112:115]// 000000005390: D3F30070 1DC2F9AC
	v_mfma_f32_16x16x32_fp8_fp8 v[112:115], a[174:175], a[126:127], v[112:115]// 000000005398: D3F30070 1DC2FDAE
	buffer_load_dword v79, s[20:23], 0 offen lds               // 0000000053A0: E0511000 8005004F
	s_add_u32 m0, 0xa00, s49                                   // 0000000053A8: 807C31FF 00000A00
	v_mfma_f32_16x16x32_fp8_fp8 v[116:119], a[168:169], a[128:129], v[116:119]// 0000000053B0: D3F30074 1DD301A8
	v_mfma_f32_16x16x32_fp8_fp8 v[116:119], a[170:171], a[130:131], v[116:119]// 0000000053B8: D3F30074 1DD305AA
	buffer_load_dword v80, s[20:23], 0 offen lds               // 0000000053C0: E0511000 80050050
	s_add_u32 m0, 0xb00, s49                                   // 0000000053C8: 807C31FF 00000B00
	v_mfma_f32_16x16x32_fp8_fp8 v[116:119], a[172:173], a[132:133], v[116:119]// 0000000053D0: D3F30074 1DD309AC
	v_mfma_f32_16x16x32_fp8_fp8 v[116:119], a[174:175], a[134:135], v[116:119]// 0000000053D8: D3F30074 1DD30DAE
	buffer_load_dword v81, s[20:23], 0 offen lds               // 0000000053E0: E0511000 80050051
	s_add_u32 m0, 0xc00, s49                                   // 0000000053E8: 807C31FF 00000C00
	v_mfma_f32_16x16x32_fp8_fp8 v[120:123], a[168:169], a[136:137], v[120:123]// 0000000053F0: D3F30078 1DE311A8
	v_mfma_f32_16x16x32_fp8_fp8 v[120:123], a[170:171], a[138:139], v[120:123]// 0000000053F8: D3F30078 1DE315AA
	buffer_load_dword v82, s[20:23], 0 offen lds               // 000000005400: E0511000 80050052
	s_add_u32 m0, 0xd00, s49                                   // 000000005408: 807C31FF 00000D00
	v_mfma_f32_16x16x32_fp8_fp8 v[120:123], a[172:173], a[140:141], v[120:123]// 000000005410: D3F30078 1DE319AC
	v_mfma_f32_16x16x32_fp8_fp8 v[120:123], a[174:175], a[142:143], v[120:123]// 000000005418: D3F30078 1DE31DAE
	buffer_load_dword v83, s[20:23], 0 offen lds               // 000000005420: E0511000 80050053
	s_add_u32 m0, 0xe00, s49                                   // 000000005428: 807C31FF 00000E00
	v_mfma_f32_16x16x32_fp8_fp8 v[124:127], a[168:169], a[144:145], v[124:127]// 000000005430: D3F3007C 1DF321A8
	v_mfma_f32_16x16x32_fp8_fp8 v[124:127], a[170:171], a[146:147], v[124:127]// 000000005438: D3F3007C 1DF325AA
	buffer_load_dword v84, s[20:23], 0 offen lds               // 000000005440: E0511000 80050054
	s_add_u32 m0, 0xf00, s49                                   // 000000005448: 807C31FF 00000F00
	v_mfma_f32_16x16x32_fp8_fp8 v[124:127], a[172:173], a[148:149], v[124:127]// 000000005450: D3F3007C 1DF329AC
	v_mfma_f32_16x16x32_fp8_fp8 v[124:127], a[174:175], a[150:151], v[124:127]// 000000005458: D3F3007C 1DF32DAE
	buffer_load_dword v85, s[20:23], 0 offen lds               // 000000005460: E0511000 80050055
	s_add_u32 m0, 0x1000, s49                                  // 000000005468: 807C31FF 00001000
	v_mfma_f32_16x16x32_fp8_fp8 v[128:131], a[168:169], a[152:153], v[128:131]// 000000005470: D3F30080 1E0331A8
	v_mfma_f32_16x16x32_fp8_fp8 v[128:131], a[170:171], a[154:155], v[128:131]// 000000005478: D3F30080 1E0335AA
	buffer_load_dword v86, s[20:23], 0 offen lds               // 000000005480: E0511000 80050056
	s_add_u32 m0, 0x1100, s49                                  // 000000005488: 807C31FF 00001100
	v_mfma_f32_16x16x32_fp8_fp8 v[128:131], a[172:173], a[156:157], v[128:131]// 000000005490: D3F30080 1E0339AC
	v_mfma_f32_16x16x32_fp8_fp8 v[128:131], a[174:175], a[158:159], v[128:131]// 000000005498: D3F30080 1E033DAE
	buffer_load_dword v87, s[20:23], 0 offen lds               // 0000000054A0: E0511000 80050057
	s_add_u32 m0, 0x1200, s49                                  // 0000000054A8: 807C31FF 00001200
	buffer_load_dword v88, s[20:23], 0 offen lds               // 0000000054B0: E0511000 80050058
	s_add_u32 m0, 0x1300, s49                                  // 0000000054B8: 807C31FF 00001300
	buffer_load_dword v89, s[20:23], 0 offen lds               // 0000000054C0: E0511000 80050059
	s_add_u32 m0, 0, s50                                       // 0000000054C8: 807C3280
	s_waitcnt vmcnt(22)                                        // 0000000054CC: BF8C4F76
	s_barrier                                                  // 0000000054D0: BF8A0000
	v_mfma_f32_16x16x32_fp8_fp8 v[132:135], a[176:177], a[80:81], v[132:135]// 0000000054D4: D3F30084 1E12A1B0
	v_mfma_f32_16x16x32_fp8_fp8 v[132:135], a[178:179], a[82:83], v[132:135]// 0000000054DC: D3F30084 1E12A5B2
	buffer_load_dwordx4 a[168:171], v90, s[84:87], 0 offen     // 0000000054E4: E05C1000 8095A85A
	v_mfma_f32_16x16x32_fp8_fp8 v[132:135], a[180:181], a[84:85], v[132:135]// 0000000054EC: D3F30084 1E12A9B4
	v_mfma_f32_16x16x32_fp8_fp8 v[132:135], a[182:183], a[86:87], v[132:135]// 0000000054F4: D3F30084 1E12ADB6
	ds_read_b128 a[0:3], v2                                    // 0000000054FC: DBFE0000 00000002
	ds_read_b128 a[4:7], v2 offset:64                          // 000000005504: DBFE0040 04000002
	v_mfma_f32_16x16x32_fp8_fp8 v[136:139], a[176:177], a[88:89], v[136:139]// 00000000550C: D3F30088 1E22B1B0
	v_mfma_f32_16x16x32_fp8_fp8 v[136:139], a[178:179], a[90:91], v[136:139]// 000000005514: D3F30088 1E22B5B2
	buffer_load_dwordx4 a[172:175], v90, s[84:87], 0 offen offset:1024// 00000000551C: E05C1400 8095AC5A
	v_mfma_f32_16x16x32_fp8_fp8 v[136:139], a[180:181], a[92:93], v[136:139]// 000000005524: D3F30088 1E22B9B4
	v_mfma_f32_16x16x32_fp8_fp8 v[136:139], a[182:183], a[94:95], v[136:139]// 00000000552C: D3F30088 1E22BDB6
	ds_read_b128 a[8:11], v2 offset:512                        // 000000005534: DBFE0200 08000002
	ds_read_b128 a[12:15], v2 offset:576                       // 00000000553C: DBFE0240 0C000002
	v_mfma_f32_16x16x32_fp8_fp8 v[140:143], a[176:177], a[96:97], v[140:143]// 000000005544: D3F3008C 1E32C1B0
	v_mfma_f32_16x16x32_fp8_fp8 v[140:143], a[178:179], a[98:99], v[140:143]// 00000000554C: D3F3008C 1E32C5B2
	v_mfma_f32_16x16x32_fp8_fp8 v[140:143], a[180:181], a[100:101], v[140:143]// 000000005554: D3F3008C 1E32C9B4
	v_mfma_f32_16x16x32_fp8_fp8 v[140:143], a[182:183], a[102:103], v[140:143]// 00000000555C: D3F3008C 1E32CDB6
	ds_read_b128 a[16:19], v2 offset:1024                      // 000000005564: DBFE0400 10000002
	ds_read_b128 a[20:23], v2 offset:1088                      // 00000000556C: DBFE0440 14000002
	v_mfma_f32_16x16x32_fp8_fp8 v[144:147], a[176:177], a[104:105], v[144:147]// 000000005574: D3F30090 1E42D1B0
	v_mfma_f32_16x16x32_fp8_fp8 v[144:147], a[178:179], a[106:107], v[144:147]// 00000000557C: D3F30090 1E42D5B2
	v_mfma_f32_16x16x32_fp8_fp8 v[144:147], a[180:181], a[108:109], v[144:147]// 000000005584: D3F30090 1E42D9B4
	v_mfma_f32_16x16x32_fp8_fp8 v[144:147], a[182:183], a[110:111], v[144:147]// 00000000558C: D3F30090 1E42DDB6
	ds_read_b128 a[24:27], v2 offset:1536                      // 000000005594: DBFE0600 18000002
	ds_read_b128 a[28:31], v2 offset:1600                      // 00000000559C: DBFE0640 1C000002
	v_mfma_f32_16x16x32_fp8_fp8 v[148:151], a[176:177], a[112:113], v[148:151]// 0000000055A4: D3F30094 1E52E1B0
	v_mfma_f32_16x16x32_fp8_fp8 v[148:151], a[178:179], a[114:115], v[148:151]// 0000000055AC: D3F30094 1E52E5B2
	v_mfma_f32_16x16x32_fp8_fp8 v[148:151], a[180:181], a[116:117], v[148:151]// 0000000055B4: D3F30094 1E52E9B4
	v_mfma_f32_16x16x32_fp8_fp8 v[148:151], a[182:183], a[118:119], v[148:151]// 0000000055BC: D3F30094 1E52EDB6
	ds_read_b128 a[32:35], v2 offset:2048                      // 0000000055C4: DBFE0800 20000002
	ds_read_b128 a[36:39], v2 offset:2112                      // 0000000055CC: DBFE0840 24000002
	v_mfma_f32_16x16x32_fp8_fp8 v[152:155], a[176:177], a[120:121], v[152:155]// 0000000055D4: D3F30098 1E62F1B0
	v_mfma_f32_16x16x32_fp8_fp8 v[152:155], a[178:179], a[122:123], v[152:155]// 0000000055DC: D3F30098 1E62F5B2
	v_mfma_f32_16x16x32_fp8_fp8 v[152:155], a[180:181], a[124:125], v[152:155]// 0000000055E4: D3F30098 1E62F9B4
	v_mfma_f32_16x16x32_fp8_fp8 v[152:155], a[182:183], a[126:127], v[152:155]// 0000000055EC: D3F30098 1E62FDB6
	ds_read_b128 a[40:43], v2 offset:2560                      // 0000000055F4: DBFE0A00 28000002
	ds_read_b128 a[44:47], v2 offset:2624                      // 0000000055FC: DBFE0A40 2C000002
	v_mfma_f32_16x16x32_fp8_fp8 v[156:159], a[176:177], a[128:129], v[156:159]// 000000005604: D3F3009C 1E7301B0
	v_mfma_f32_16x16x32_fp8_fp8 v[156:159], a[178:179], a[130:131], v[156:159]// 00000000560C: D3F3009C 1E7305B2
	v_mfma_f32_16x16x32_fp8_fp8 v[156:159], a[180:181], a[132:133], v[156:159]// 000000005614: D3F3009C 1E7309B4
	v_mfma_f32_16x16x32_fp8_fp8 v[156:159], a[182:183], a[134:135], v[156:159]// 00000000561C: D3F3009C 1E730DB6
	ds_read_b128 a[48:51], v2 offset:3072                      // 000000005624: DBFE0C00 30000002
	ds_read_b128 a[52:55], v2 offset:3136                      // 00000000562C: DBFE0C40 34000002
	v_mfma_f32_16x16x32_fp8_fp8 v[160:163], a[176:177], a[136:137], v[160:163]// 000000005634: D3F300A0 1E8311B0
	v_mfma_f32_16x16x32_fp8_fp8 v[160:163], a[178:179], a[138:139], v[160:163]// 00000000563C: D3F300A0 1E8315B2
	v_mfma_f32_16x16x32_fp8_fp8 v[160:163], a[180:181], a[140:141], v[160:163]// 000000005644: D3F300A0 1E8319B4
	v_mfma_f32_16x16x32_fp8_fp8 v[160:163], a[182:183], a[142:143], v[160:163]// 00000000564C: D3F300A0 1E831DB6
	ds_read_b128 a[56:59], v2 offset:3584                      // 000000005654: DBFE0E00 38000002
	ds_read_b128 a[60:63], v2 offset:3648                      // 00000000565C: DBFE0E40 3C000002
	v_mfma_f32_16x16x32_fp8_fp8 v[164:167], a[176:177], a[144:145], v[164:167]// 000000005664: D3F300A4 1E9321B0
	s_add_u32 s60, 0x180, s80                                  // 00000000566C: 803C50FF 00000180
	s_cmp_lt_u32 s60, s81                                      // 000000005674: BF0A513C
	s_cselect_b32 s57, s57, 0                                  // 000000005678: 85398039
	v_mfma_f32_16x16x32_fp8_fp8 v[164:167], a[178:179], a[146:147], v[164:167]// 00000000567C: D3F300A4 1E9325B2
	s_add_u32 s60, 0x100, s80                                  // 000000005684: 803C50FF 00000100
	s_cmp_lt_u32 s60, s81                                      // 00000000568C: BF0A513C
	s_cselect_b32 s58, s58, 0                                  // 000000005690: 853A803A
	v_mfma_f32_16x16x32_fp8_fp8 v[164:167], a[180:181], a[148:149], v[164:167]// 000000005694: D3F300A4 1E9329B4
	s_add_u32 s60, 0x100, s80                                  // 00000000569C: 803C50FF 00000100
	s_cmp_lt_u32 s60, s81                                      // 0000000056A4: BF0A513C
	s_cselect_b32 s83, s83, 0                                  // 0000000056A8: 85538053
	v_mfma_f32_16x16x32_fp8_fp8 v[164:167], a[182:183], a[150:151], v[164:167]// 0000000056AC: D3F300A4 1E932DB6
	ds_read_b128 a[64:67], v2 offset:4096                      // 0000000056B4: DBFE1000 40000002
	ds_read_b128 a[68:71], v2 offset:4160                      // 0000000056BC: DBFE1040 44000002
	s_add_u32 s24, s58, s24                                    // 0000000056C4: 8018183A
	s_addc_u32 s25, 0, s25                                     // 0000000056C8: 82191980
	v_mfma_f32_16x16x32_fp8_fp8 v[168:171], a[176:177], a[152:153], v[168:171]// 0000000056CC: D3F300A8 1EA331B0
	s_add_u32 s20, s57, s20                                    // 0000000056D4: 80141439
	s_addc_u32 s21, 0, s21                                     // 0000000056D8: 82151580
	v_mfma_f32_16x16x32_fp8_fp8 v[168:171], a[178:179], a[154:155], v[168:171]// 0000000056DC: D3F300A8 1EA335B2
	s_add_u32 s84, s83, s84                                    // 0000000056E4: 80545453
	s_addc_u32 s85, 0, s85                                     // 0000000056E8: 82555580
	v_mfma_f32_16x16x32_fp8_fp8 v[168:171], a[180:181], a[156:157], v[168:171]// 0000000056EC: D3F300A8 1EA339B4
	v_mfma_f32_16x16x32_fp8_fp8 v[168:171], a[182:183], a[158:159], v[168:171]// 0000000056F4: D3F300A8 1EA33DB6
	ds_read_b128 a[72:75], v2 offset:4608                      // 0000000056FC: DBFE1200 48000002
	ds_read_b128 a[76:79], v2 offset:4672                      // 000000005704: DBFE1240 4C000002
	s_addk_i32 s80, 0x80                                       // 00000000570C: B7500080
	s_cmp_lt_i32 s80, s81                                      // 000000005710: BF045150
	s_cbranch_scc0 label_0B47                                  // 000000005714: BF840001
	s_branch label_03FC                                        // 000000005718: BF82F8B5

000000000000571c <label_0B47>:
	v_mul_f32_dpp v92, v24, v92 row_newbcast:0 row_mask:0xf bank_mask:0xf// 00000000571C: 0AB8B8FA FF015018
	v_mul_f32_dpp v93, v24, v93 row_newbcast:1 row_mask:0xf bank_mask:0xf// 000000005724: 0ABABAFA FF015118
	v_mul_f32_dpp v94, v24, v94 row_newbcast:2 row_mask:0xf bank_mask:0xf// 00000000572C: 0ABCBCFA FF015218
	v_mul_f32_dpp v95, v24, v95 row_newbcast:3 row_mask:0xf bank_mask:0xf// 000000005734: 0ABEBEFA FF015318
	v_mul_f32_dpp v96, v24, v96 row_newbcast:0 row_mask:0xf bank_mask:0xf// 00000000573C: 0AC0C0FA FF015018
	v_mul_f32_dpp v97, v24, v97 row_newbcast:1 row_mask:0xf bank_mask:0xf// 000000005744: 0AC2C2FA FF015118
	v_mul_f32_dpp v98, v24, v98 row_newbcast:2 row_mask:0xf bank_mask:0xf// 00000000574C: 0AC4C4FA FF015218
	v_mul_f32_dpp v99, v24, v99 row_newbcast:3 row_mask:0xf bank_mask:0xf// 000000005754: 0AC6C6FA FF015318
	v_mul_f32_dpp v100, v24, v100 row_newbcast:0 row_mask:0xf bank_mask:0xf// 00000000575C: 0AC8C8FA FF015018
	v_mul_f32_dpp v101, v24, v101 row_newbcast:1 row_mask:0xf bank_mask:0xf// 000000005764: 0ACACAFA FF015118
	v_mul_f32_dpp v102, v24, v102 row_newbcast:2 row_mask:0xf bank_mask:0xf// 00000000576C: 0ACCCCFA FF015218
	v_mul_f32_dpp v103, v24, v103 row_newbcast:3 row_mask:0xf bank_mask:0xf// 000000005774: 0ACECEFA FF015318
	v_mul_f32_dpp v104, v24, v104 row_newbcast:0 row_mask:0xf bank_mask:0xf// 00000000577C: 0AD0D0FA FF015018
	v_mul_f32_dpp v105, v24, v105 row_newbcast:1 row_mask:0xf bank_mask:0xf// 000000005784: 0AD2D2FA FF015118
	v_mul_f32_dpp v106, v24, v106 row_newbcast:2 row_mask:0xf bank_mask:0xf// 00000000578C: 0AD4D4FA FF015218
	v_mul_f32_dpp v107, v24, v107 row_newbcast:3 row_mask:0xf bank_mask:0xf// 000000005794: 0AD6D6FA FF015318
	v_mul_f32_dpp v108, v24, v108 row_newbcast:0 row_mask:0xf bank_mask:0xf// 00000000579C: 0AD8D8FA FF015018
	v_mul_f32_dpp v109, v24, v109 row_newbcast:1 row_mask:0xf bank_mask:0xf// 0000000057A4: 0ADADAFA FF015118
	v_mul_f32_dpp v110, v24, v110 row_newbcast:2 row_mask:0xf bank_mask:0xf// 0000000057AC: 0ADCDCFA FF015218
	v_mul_f32_dpp v111, v24, v111 row_newbcast:3 row_mask:0xf bank_mask:0xf// 0000000057B4: 0ADEDEFA FF015318
	v_mul_f32_dpp v112, v24, v112 row_newbcast:0 row_mask:0xf bank_mask:0xf// 0000000057BC: 0AE0E0FA FF015018
	v_mul_f32_dpp v113, v24, v113 row_newbcast:1 row_mask:0xf bank_mask:0xf// 0000000057C4: 0AE2E2FA FF015118
	v_mul_f32_dpp v114, v24, v114 row_newbcast:2 row_mask:0xf bank_mask:0xf// 0000000057CC: 0AE4E4FA FF015218
	v_mul_f32_dpp v115, v24, v115 row_newbcast:3 row_mask:0xf bank_mask:0xf// 0000000057D4: 0AE6E6FA FF015318
	v_mul_f32_dpp v116, v24, v116 row_newbcast:0 row_mask:0xf bank_mask:0xf// 0000000057DC: 0AE8E8FA FF015018
	v_mul_f32_dpp v117, v24, v117 row_newbcast:1 row_mask:0xf bank_mask:0xf// 0000000057E4: 0AEAEAFA FF015118
	v_mul_f32_dpp v118, v24, v118 row_newbcast:2 row_mask:0xf bank_mask:0xf// 0000000057EC: 0AECECFA FF015218
	v_mul_f32_dpp v119, v24, v119 row_newbcast:3 row_mask:0xf bank_mask:0xf// 0000000057F4: 0AEEEEFA FF015318
	v_mul_f32_dpp v120, v24, v120 row_newbcast:0 row_mask:0xf bank_mask:0xf// 0000000057FC: 0AF0F0FA FF015018
	v_mul_f32_dpp v121, v24, v121 row_newbcast:1 row_mask:0xf bank_mask:0xf// 000000005804: 0AF2F2FA FF015118
	v_mul_f32_dpp v122, v24, v122 row_newbcast:2 row_mask:0xf bank_mask:0xf// 00000000580C: 0AF4F4FA FF015218
	v_mul_f32_dpp v123, v24, v123 row_newbcast:3 row_mask:0xf bank_mask:0xf// 000000005814: 0AF6F6FA FF015318
	v_mul_f32_dpp v124, v24, v124 row_newbcast:0 row_mask:0xf bank_mask:0xf// 00000000581C: 0AF8F8FA FF015018
	v_mul_f32_dpp v125, v24, v125 row_newbcast:1 row_mask:0xf bank_mask:0xf// 000000005824: 0AFAFAFA FF015118
	v_mul_f32_dpp v126, v24, v126 row_newbcast:2 row_mask:0xf bank_mask:0xf// 00000000582C: 0AFCFCFA FF015218
	v_mul_f32_dpp v127, v24, v127 row_newbcast:3 row_mask:0xf bank_mask:0xf// 000000005834: 0AFEFEFA FF015318
	v_mul_f32_dpp v128, v24, v128 row_newbcast:0 row_mask:0xf bank_mask:0xf// 00000000583C: 0B0100FA FF015018
	v_mul_f32_dpp v129, v24, v129 row_newbcast:1 row_mask:0xf bank_mask:0xf// 000000005844: 0B0302FA FF015118
	v_mul_f32_dpp v130, v24, v130 row_newbcast:2 row_mask:0xf bank_mask:0xf// 00000000584C: 0B0504FA FF015218
	v_mul_f32_dpp v131, v24, v131 row_newbcast:3 row_mask:0xf bank_mask:0xf// 000000005854: 0B0706FA FF015318
	v_mul_f32_dpp v132, v27, v132 row_newbcast:0 row_mask:0xf bank_mask:0xf// 00000000585C: 0B0908FA FF01501B
	v_mul_f32_dpp v133, v27, v133 row_newbcast:1 row_mask:0xf bank_mask:0xf// 000000005864: 0B0B0AFA FF01511B
	v_mul_f32_dpp v134, v27, v134 row_newbcast:2 row_mask:0xf bank_mask:0xf// 00000000586C: 0B0D0CFA FF01521B
	v_mul_f32_dpp v135, v27, v135 row_newbcast:3 row_mask:0xf bank_mask:0xf// 000000005874: 0B0F0EFA FF01531B
	v_mul_f32_dpp v136, v27, v136 row_newbcast:0 row_mask:0xf bank_mask:0xf// 00000000587C: 0B1110FA FF01501B
	v_mul_f32_dpp v137, v27, v137 row_newbcast:1 row_mask:0xf bank_mask:0xf// 000000005884: 0B1312FA FF01511B
	v_mul_f32_dpp v138, v27, v138 row_newbcast:2 row_mask:0xf bank_mask:0xf// 00000000588C: 0B1514FA FF01521B
	v_mul_f32_dpp v139, v27, v139 row_newbcast:3 row_mask:0xf bank_mask:0xf// 000000005894: 0B1716FA FF01531B
	v_mul_f32_dpp v140, v27, v140 row_newbcast:0 row_mask:0xf bank_mask:0xf// 00000000589C: 0B1918FA FF01501B
	v_mul_f32_dpp v141, v27, v141 row_newbcast:1 row_mask:0xf bank_mask:0xf// 0000000058A4: 0B1B1AFA FF01511B
	v_mul_f32_dpp v142, v27, v142 row_newbcast:2 row_mask:0xf bank_mask:0xf// 0000000058AC: 0B1D1CFA FF01521B
	v_mul_f32_dpp v143, v27, v143 row_newbcast:3 row_mask:0xf bank_mask:0xf// 0000000058B4: 0B1F1EFA FF01531B
	v_mul_f32_dpp v144, v27, v144 row_newbcast:0 row_mask:0xf bank_mask:0xf// 0000000058BC: 0B2120FA FF01501B
	v_mul_f32_dpp v145, v27, v145 row_newbcast:1 row_mask:0xf bank_mask:0xf// 0000000058C4: 0B2322FA FF01511B
	v_mul_f32_dpp v146, v27, v146 row_newbcast:2 row_mask:0xf bank_mask:0xf// 0000000058CC: 0B2524FA FF01521B
	v_mul_f32_dpp v147, v27, v147 row_newbcast:3 row_mask:0xf bank_mask:0xf// 0000000058D4: 0B2726FA FF01531B
	v_mul_f32_dpp v148, v27, v148 row_newbcast:0 row_mask:0xf bank_mask:0xf// 0000000058DC: 0B2928FA FF01501B
	v_mul_f32_dpp v149, v27, v149 row_newbcast:1 row_mask:0xf bank_mask:0xf// 0000000058E4: 0B2B2AFA FF01511B
	v_mul_f32_dpp v150, v27, v150 row_newbcast:2 row_mask:0xf bank_mask:0xf// 0000000058EC: 0B2D2CFA FF01521B
	v_mul_f32_dpp v151, v27, v151 row_newbcast:3 row_mask:0xf bank_mask:0xf// 0000000058F4: 0B2F2EFA FF01531B
	v_mul_f32_dpp v152, v27, v152 row_newbcast:0 row_mask:0xf bank_mask:0xf// 0000000058FC: 0B3130FA FF01501B
	v_mul_f32_dpp v153, v27, v153 row_newbcast:1 row_mask:0xf bank_mask:0xf// 000000005904: 0B3332FA FF01511B
	v_mul_f32_dpp v154, v27, v154 row_newbcast:2 row_mask:0xf bank_mask:0xf// 00000000590C: 0B3534FA FF01521B
	v_mul_f32_dpp v155, v27, v155 row_newbcast:3 row_mask:0xf bank_mask:0xf// 000000005914: 0B3736FA FF01531B
	v_mul_f32_dpp v156, v27, v156 row_newbcast:0 row_mask:0xf bank_mask:0xf// 00000000591C: 0B3938FA FF01501B
	v_mul_f32_dpp v157, v27, v157 row_newbcast:1 row_mask:0xf bank_mask:0xf// 000000005924: 0B3B3AFA FF01511B
	v_mul_f32_dpp v158, v27, v158 row_newbcast:2 row_mask:0xf bank_mask:0xf// 00000000592C: 0B3D3CFA FF01521B
	v_mul_f32_dpp v159, v27, v159 row_newbcast:3 row_mask:0xf bank_mask:0xf// 000000005934: 0B3F3EFA FF01531B
	v_mul_f32_dpp v160, v27, v160 row_newbcast:0 row_mask:0xf bank_mask:0xf// 00000000593C: 0B4140FA FF01501B
	v_mul_f32_dpp v161, v27, v161 row_newbcast:1 row_mask:0xf bank_mask:0xf// 000000005944: 0B4342FA FF01511B
	v_mul_f32_dpp v162, v27, v162 row_newbcast:2 row_mask:0xf bank_mask:0xf// 00000000594C: 0B4544FA FF01521B
	v_mul_f32_dpp v163, v27, v163 row_newbcast:3 row_mask:0xf bank_mask:0xf// 000000005954: 0B4746FA FF01531B
	v_mul_f32_dpp v164, v27, v164 row_newbcast:0 row_mask:0xf bank_mask:0xf// 00000000595C: 0B4948FA FF01501B
	v_mul_f32_dpp v165, v27, v165 row_newbcast:1 row_mask:0xf bank_mask:0xf// 000000005964: 0B4B4AFA FF01511B
	v_mul_f32_dpp v166, v27, v166 row_newbcast:2 row_mask:0xf bank_mask:0xf// 00000000596C: 0B4D4CFA FF01521B
	v_mul_f32_dpp v167, v27, v167 row_newbcast:3 row_mask:0xf bank_mask:0xf// 000000005974: 0B4F4EFA FF01531B
	v_mul_f32_dpp v168, v27, v168 row_newbcast:0 row_mask:0xf bank_mask:0xf// 00000000597C: 0B5150FA FF01501B
	v_mul_f32_dpp v169, v27, v169 row_newbcast:1 row_mask:0xf bank_mask:0xf// 000000005984: 0B5352FA FF01511B
	v_mul_f32_dpp v170, v27, v170 row_newbcast:2 row_mask:0xf bank_mask:0xf// 00000000598C: 0B5554FA FF01521B
	v_mul_f32_dpp v171, v27, v171 row_newbcast:3 row_mask:0xf bank_mask:0xf// 000000005994: 0B5756FA FF01531B
	v_mul_f32_e32 v40, v40, v172                               // 00000000599C: 0A515928
	v_mov_b32_e32 v4, v40                                      // 0000000059A0: 7E080328
	v_mov_b32_e32 v5, v4                                       // 0000000059A4: 7E0A0304
	v_pk_mul_f32 v[92:93], v[4:5], v[92:93]                    // 0000000059A8: D3B1405C 1802B904
	v_pk_mul_f32 v[132:133], v[4:5], v[132:133]                // 0000000059B0: D3B14084 18030904
	v_pk_mul_f32 v[94:95], v[4:5], v[94:95]                    // 0000000059B8: D3B1405E 1802BD04
	v_pk_mul_f32 v[134:135], v[4:5], v[134:135]                // 0000000059C0: D3B14086 18030D04
	v_mul_f32_e32 v41, v41, v173                               // 0000000059C8: 0A535B29
	v_mov_b32_e32 v4, v41                                      // 0000000059CC: 7E080329
	v_mov_b32_e32 v5, v4                                       // 0000000059D0: 7E0A0304
	v_pk_mul_f32 v[96:97], v[4:5], v[96:97]                    // 0000000059D4: D3B14060 1802C104
	v_pk_mul_f32 v[136:137], v[4:5], v[136:137]                // 0000000059DC: D3B14088 18031104
	v_pk_mul_f32 v[98:99], v[4:5], v[98:99]                    // 0000000059E4: D3B14062 1802C504
	v_pk_mul_f32 v[138:139], v[4:5], v[138:139]                // 0000000059EC: D3B1408A 18031504
	v_mul_f32_e32 v42, v42, v174                               // 0000000059F4: 0A555D2A
	v_mov_b32_e32 v4, v42                                      // 0000000059F8: 7E08032A
	v_mov_b32_e32 v5, v4                                       // 0000000059FC: 7E0A0304
	v_pk_mul_f32 v[100:101], v[4:5], v[100:101]                // 000000005A00: D3B14064 1802C904
	v_pk_mul_f32 v[140:141], v[4:5], v[140:141]                // 000000005A08: D3B1408C 18031904
	v_pk_mul_f32 v[102:103], v[4:5], v[102:103]                // 000000005A10: D3B14066 1802CD04
	v_pk_mul_f32 v[142:143], v[4:5], v[142:143]                // 000000005A18: D3B1408E 18031D04
	v_mul_f32_e32 v43, v43, v175                               // 000000005A20: 0A575F2B
	v_mov_b32_e32 v4, v43                                      // 000000005A24: 7E08032B
	v_mov_b32_e32 v5, v4                                       // 000000005A28: 7E0A0304
	v_pk_mul_f32 v[104:105], v[4:5], v[104:105]                // 000000005A2C: D3B14068 1802D104
	v_pk_mul_f32 v[144:145], v[4:5], v[144:145]                // 000000005A34: D3B14090 18032104
	v_pk_mul_f32 v[106:107], v[4:5], v[106:107]                // 000000005A3C: D3B1406A 1802D504
	v_pk_mul_f32 v[146:147], v[4:5], v[146:147]                // 000000005A44: D3B14092 18032504
	v_mul_f32_e32 v44, v44, v176                               // 000000005A4C: 0A59612C
	v_mov_b32_e32 v4, v44                                      // 000000005A50: 7E08032C
	v_mov_b32_e32 v5, v4                                       // 000000005A54: 7E0A0304
	v_pk_mul_f32 v[108:109], v[4:5], v[108:109]                // 000000005A58: D3B1406C 1802D904
	v_pk_mul_f32 v[148:149], v[4:5], v[148:149]                // 000000005A60: D3B14094 18032904
	v_pk_mul_f32 v[110:111], v[4:5], v[110:111]                // 000000005A68: D3B1406E 1802DD04
	v_pk_mul_f32 v[150:151], v[4:5], v[150:151]                // 000000005A70: D3B14096 18032D04
	v_mul_f32_e32 v45, v45, v177                               // 000000005A78: 0A5B632D
	v_mov_b32_e32 v4, v45                                      // 000000005A7C: 7E08032D
	v_mov_b32_e32 v5, v4                                       // 000000005A80: 7E0A0304
	v_pk_mul_f32 v[112:113], v[4:5], v[112:113]                // 000000005A84: D3B14070 1802E104
	v_pk_mul_f32 v[152:153], v[4:5], v[152:153]                // 000000005A8C: D3B14098 18033104
	v_pk_mul_f32 v[114:115], v[4:5], v[114:115]                // 000000005A94: D3B14072 1802E504
	v_pk_mul_f32 v[154:155], v[4:5], v[154:155]                // 000000005A9C: D3B1409A 18033504
	v_mul_f32_e32 v46, v46, v178                               // 000000005AA4: 0A5D652E
	v_mov_b32_e32 v4, v46                                      // 000000005AA8: 7E08032E
	v_mov_b32_e32 v5, v4                                       // 000000005AAC: 7E0A0304
	v_pk_mul_f32 v[116:117], v[4:5], v[116:117]                // 000000005AB0: D3B14074 1802E904
	v_pk_mul_f32 v[156:157], v[4:5], v[156:157]                // 000000005AB8: D3B1409C 18033904
	v_pk_mul_f32 v[118:119], v[4:5], v[118:119]                // 000000005AC0: D3B14076 1802ED04
	v_pk_mul_f32 v[158:159], v[4:5], v[158:159]                // 000000005AC8: D3B1409E 18033D04
	v_mul_f32_e32 v47, v47, v179                               // 000000005AD0: 0A5F672F
	v_mov_b32_e32 v4, v47                                      // 000000005AD4: 7E08032F
	v_mov_b32_e32 v5, v4                                       // 000000005AD8: 7E0A0304
	v_pk_mul_f32 v[120:121], v[4:5], v[120:121]                // 000000005ADC: D3B14078 1802F104
	v_pk_mul_f32 v[160:161], v[4:5], v[160:161]                // 000000005AE4: D3B140A0 18034104
	v_pk_mul_f32 v[122:123], v[4:5], v[122:123]                // 000000005AEC: D3B1407A 1802F504
	v_pk_mul_f32 v[162:163], v[4:5], v[162:163]                // 000000005AF4: D3B140A2 18034504
	v_mul_f32_e32 v48, v48, v180                               // 000000005AFC: 0A616930
	v_mov_b32_e32 v4, v48                                      // 000000005B00: 7E080330
	v_mov_b32_e32 v5, v4                                       // 000000005B04: 7E0A0304
	v_pk_mul_f32 v[124:125], v[4:5], v[124:125]                // 000000005B08: D3B1407C 1802F904
	v_pk_mul_f32 v[164:165], v[4:5], v[164:165]                // 000000005B10: D3B140A4 18034904
	v_pk_mul_f32 v[126:127], v[4:5], v[126:127]                // 000000005B18: D3B1407E 1802FD04
	v_pk_mul_f32 v[166:167], v[4:5], v[166:167]                // 000000005B20: D3B140A6 18034D04
	v_mul_f32_e32 v49, v49, v181                               // 000000005B28: 0A636B31
	v_mov_b32_e32 v4, v49                                      // 000000005B2C: 7E080331
	v_mov_b32_e32 v5, v4                                       // 000000005B30: 7E0A0304
	v_pk_mul_f32 v[128:129], v[4:5], v[128:129]                // 000000005B34: D3B14080 18030104
	v_pk_mul_f32 v[168:169], v[4:5], v[168:169]                // 000000005B3C: D3B140A8 18035104
	v_pk_mul_f32 v[130:131], v[4:5], v[130:131]                // 000000005B44: D3B14082 18030504
	v_pk_mul_f32 v[170:171], v[4:5], v[170:171]                // 000000005B4C: D3B140AA 18035504
	s_cmp_eq_u32 s88, 0                                        // 000000005B54: BF068058
	s_cbranch_scc0 label_13BC                                  // 000000005B58: BF840765
	s_cmp_eq_u32 s89, 0                                        // 000000005B5C: BF068059
	s_cbranch_scc1 label_0DEE                                  // 000000005B60: BF850195
	v_mov_b32_e32 v8, v1                                       // 000000005B64: 7E100301
	v_mov_b32_e32 v9, v1                                       // 000000005B68: 7E120301
	s_mov_b32 s60, s6                                          // 000000005B6C: BEBC0006
	s_mov_b32 s61, s6                                          // 000000005B70: BEBD0006
	v_pk_mul_f32 v[4:5], v[92:93], v[92:93]                    // 000000005B74: D3B14004 1802B95C
	v_pk_mul_f32 v[6:7], v[94:95], v[94:95]                    // 000000005B7C: D3B14006 1802BD5E
	v_pk_fma_f32 v[4:5], v[4:5], s[78:79], v[8:9]              // 000000005B84: D3B04004 1C209D04
	v_pk_fma_f32 v[6:7], v[6:7], s[78:79], v[8:9]              // 000000005B8C: D3B04006 1C209D06
	v_pk_mul_f32 v[4:5], v[4:5], v[92:93]                      // 000000005B94: D3B14004 1802B904
	v_pk_mul_f32 v[6:7], v[6:7], v[94:95]                      // 000000005B9C: D3B14006 1802BD06
	v_pk_mul_f32 v[4:5], v[4:5], s[60:61]                      // 000000005BA4: D3B14004 18007904
	v_pk_mul_f32 v[6:7], v[6:7], s[60:61]                      // 000000005BAC: D3B14006 18007906
	v_exp_f32_e32 v4, v4                                       // 000000005BB4: 7E084104
	v_exp_f32_e32 v5, v5                                       // 000000005BB8: 7E0A4105
	v_exp_f32_e32 v6, v6                                       // 000000005BBC: 7E0C4106
	v_exp_f32_e32 v7, v7                                       // 000000005BC0: 7E0E4107
	v_add_f32_e64 v4, v4, 1.0                                  // 000000005BC4: D1010004 0001E504
	v_add_f32_e64 v5, v5, 1.0                                  // 000000005BCC: D1010005 0001E505
	v_add_f32_e64 v6, v6, 1.0                                  // 000000005BD4: D1010006 0001E506
	v_add_f32_e64 v7, v7, 1.0                                  // 000000005BDC: D1010007 0001E507
	v_rcp_f32_e32 v4, v4                                       // 000000005BE4: 7E084504
	v_rcp_f32_e32 v5, v5                                       // 000000005BE8: 7E0A4505
	v_rcp_f32_e32 v6, v6                                       // 000000005BEC: 7E0C4506
	v_rcp_f32_e32 v7, v7                                       // 000000005BF0: 7E0E4507
	v_mul_f32_e32 v92, v92, v4                                 // 000000005BF4: 0AB8095C
	v_mul_f32_e32 v93, v93, v5                                 // 000000005BF8: 0ABA0B5D
	v_mul_f32_e32 v94, v94, v6                                 // 000000005BFC: 0ABC0D5E
	v_mul_f32_e32 v95, v95, v7                                 // 000000005C00: 0ABE0F5F
	v_mul_f32_e32 v92, v92, v132                               // 000000005C04: 0AB9095C
	v_mul_f32_e32 v93, v93, v133                               // 000000005C08: 0ABB0B5D
	v_mul_f32_e32 v94, v94, v134                               // 000000005C0C: 0ABD0D5E
	v_mul_f32_e32 v95, v95, v135                               // 000000005C10: 0ABF0F5F
	v_pk_mul_f32 v[4:5], v[96:97], v[96:97]                    // 000000005C14: D3B14004 1802C160
	v_pk_mul_f32 v[6:7], v[98:99], v[98:99]                    // 000000005C1C: D3B14006 1802C562
	v_pk_fma_f32 v[4:5], v[4:5], s[78:79], v[8:9]              // 000000005C24: D3B04004 1C209D04
	v_pk_fma_f32 v[6:7], v[6:7], s[78:79], v[8:9]              // 000000005C2C: D3B04006 1C209D06
	v_pk_mul_f32 v[4:5], v[4:5], v[96:97]                      // 000000005C34: D3B14004 1802C104
	v_pk_mul_f32 v[6:7], v[6:7], v[98:99]                      // 000000005C3C: D3B14006 1802C506
	v_pk_mul_f32 v[4:5], v[4:5], s[60:61]                      // 000000005C44: D3B14004 18007904
	v_pk_mul_f32 v[6:7], v[6:7], s[60:61]                      // 000000005C4C: D3B14006 18007906
	v_exp_f32_e32 v4, v4                                       // 000000005C54: 7E084104
	v_exp_f32_e32 v5, v5                                       // 000000005C58: 7E0A4105
	v_exp_f32_e32 v6, v6                                       // 000000005C5C: 7E0C4106
	v_exp_f32_e32 v7, v7                                       // 000000005C60: 7E0E4107
	v_add_f32_e64 v4, v4, 1.0                                  // 000000005C64: D1010004 0001E504
	v_add_f32_e64 v5, v5, 1.0                                  // 000000005C6C: D1010005 0001E505
	v_add_f32_e64 v6, v6, 1.0                                  // 000000005C74: D1010006 0001E506
	v_add_f32_e64 v7, v7, 1.0                                  // 000000005C7C: D1010007 0001E507
	v_rcp_f32_e32 v4, v4                                       // 000000005C84: 7E084504
	v_rcp_f32_e32 v5, v5                                       // 000000005C88: 7E0A4505
	v_rcp_f32_e32 v6, v6                                       // 000000005C8C: 7E0C4506
	v_rcp_f32_e32 v7, v7                                       // 000000005C90: 7E0E4507
	v_mul_f32_e32 v96, v96, v4                                 // 000000005C94: 0AC00960
	v_mul_f32_e32 v97, v97, v5                                 // 000000005C98: 0AC20B61
	v_mul_f32_e32 v98, v98, v6                                 // 000000005C9C: 0AC40D62
	v_mul_f32_e32 v99, v99, v7                                 // 000000005CA0: 0AC60F63
	v_mul_f32_e32 v96, v96, v136                               // 000000005CA4: 0AC11160
	v_mul_f32_e32 v97, v97, v137                               // 000000005CA8: 0AC31361
	v_mul_f32_e32 v98, v98, v138                               // 000000005CAC: 0AC51562
	v_mul_f32_e32 v99, v99, v139                               // 000000005CB0: 0AC71763
	v_pk_mul_f32 v[4:5], v[100:101], v[100:101]                // 000000005CB4: D3B14004 1802C964
	v_pk_mul_f32 v[6:7], v[102:103], v[102:103]                // 000000005CBC: D3B14006 1802CD66
	v_pk_fma_f32 v[4:5], v[4:5], s[78:79], v[8:9]              // 000000005CC4: D3B04004 1C209D04
	v_pk_fma_f32 v[6:7], v[6:7], s[78:79], v[8:9]              // 000000005CCC: D3B04006 1C209D06
	v_pk_mul_f32 v[4:5], v[4:5], v[100:101]                    // 000000005CD4: D3B14004 1802C904
	v_pk_mul_f32 v[6:7], v[6:7], v[102:103]                    // 000000005CDC: D3B14006 1802CD06
	v_pk_mul_f32 v[4:5], v[4:5], s[60:61]                      // 000000005CE4: D3B14004 18007904
	v_pk_mul_f32 v[6:7], v[6:7], s[60:61]                      // 000000005CEC: D3B14006 18007906
	v_exp_f32_e32 v4, v4                                       // 000000005CF4: 7E084104
	v_exp_f32_e32 v5, v5                                       // 000000005CF8: 7E0A4105
	v_exp_f32_e32 v6, v6                                       // 000000005CFC: 7E0C4106
	v_exp_f32_e32 v7, v7                                       // 000000005D00: 7E0E4107
	v_add_f32_e64 v4, v4, 1.0                                  // 000000005D04: D1010004 0001E504
	v_add_f32_e64 v5, v5, 1.0                                  // 000000005D0C: D1010005 0001E505
	v_add_f32_e64 v6, v6, 1.0                                  // 000000005D14: D1010006 0001E506
	v_add_f32_e64 v7, v7, 1.0                                  // 000000005D1C: D1010007 0001E507
	v_rcp_f32_e32 v4, v4                                       // 000000005D24: 7E084504
	v_rcp_f32_e32 v5, v5                                       // 000000005D28: 7E0A4505
	v_rcp_f32_e32 v6, v6                                       // 000000005D2C: 7E0C4506
	v_rcp_f32_e32 v7, v7                                       // 000000005D30: 7E0E4507
	v_mul_f32_e32 v100, v100, v4                               // 000000005D34: 0AC80964
	v_mul_f32_e32 v101, v101, v5                               // 000000005D38: 0ACA0B65
	v_mul_f32_e32 v102, v102, v6                               // 000000005D3C: 0ACC0D66
	v_mul_f32_e32 v103, v103, v7                               // 000000005D40: 0ACE0F67
	v_mul_f32_e32 v100, v100, v140                             // 000000005D44: 0AC91964
	v_mul_f32_e32 v101, v101, v141                             // 000000005D48: 0ACB1B65
	v_mul_f32_e32 v102, v102, v142                             // 000000005D4C: 0ACD1D66
	v_mul_f32_e32 v103, v103, v143                             // 000000005D50: 0ACF1F67
	v_pk_mul_f32 v[4:5], v[104:105], v[104:105]                // 000000005D54: D3B14004 1802D168
	v_pk_mul_f32 v[6:7], v[106:107], v[106:107]                // 000000005D5C: D3B14006 1802D56A
	v_pk_fma_f32 v[4:5], v[4:5], s[78:79], v[8:9]              // 000000005D64: D3B04004 1C209D04
	v_pk_fma_f32 v[6:7], v[6:7], s[78:79], v[8:9]              // 000000005D6C: D3B04006 1C209D06
	v_pk_mul_f32 v[4:5], v[4:5], v[104:105]                    // 000000005D74: D3B14004 1802D104
	v_pk_mul_f32 v[6:7], v[6:7], v[106:107]                    // 000000005D7C: D3B14006 1802D506
	v_pk_mul_f32 v[4:5], v[4:5], s[60:61]                      // 000000005D84: D3B14004 18007904
	v_pk_mul_f32 v[6:7], v[6:7], s[60:61]                      // 000000005D8C: D3B14006 18007906
	v_exp_f32_e32 v4, v4                                       // 000000005D94: 7E084104
	v_exp_f32_e32 v5, v5                                       // 000000005D98: 7E0A4105
	v_exp_f32_e32 v6, v6                                       // 000000005D9C: 7E0C4106
	v_exp_f32_e32 v7, v7                                       // 000000005DA0: 7E0E4107
	v_add_f32_e64 v4, v4, 1.0                                  // 000000005DA4: D1010004 0001E504
	v_add_f32_e64 v5, v5, 1.0                                  // 000000005DAC: D1010005 0001E505
	v_add_f32_e64 v6, v6, 1.0                                  // 000000005DB4: D1010006 0001E506
	v_add_f32_e64 v7, v7, 1.0                                  // 000000005DBC: D1010007 0001E507
	v_rcp_f32_e32 v4, v4                                       // 000000005DC4: 7E084504
	v_rcp_f32_e32 v5, v5                                       // 000000005DC8: 7E0A4505
	v_rcp_f32_e32 v6, v6                                       // 000000005DCC: 7E0C4506
	v_rcp_f32_e32 v7, v7                                       // 000000005DD0: 7E0E4507
	v_mul_f32_e32 v104, v104, v4                               // 000000005DD4: 0AD00968
	v_mul_f32_e32 v105, v105, v5                               // 000000005DD8: 0AD20B69
	v_mul_f32_e32 v106, v106, v6                               // 000000005DDC: 0AD40D6A
	v_mul_f32_e32 v107, v107, v7                               // 000000005DE0: 0AD60F6B
	v_mul_f32_e32 v104, v104, v144                             // 000000005DE4: 0AD12168
	v_mul_f32_e32 v105, v105, v145                             // 000000005DE8: 0AD32369
	v_mul_f32_e32 v106, v106, v146                             // 000000005DEC: 0AD5256A
	v_mul_f32_e32 v107, v107, v147                             // 000000005DF0: 0AD7276B
	v_pk_mul_f32 v[4:5], v[108:109], v[108:109]                // 000000005DF4: D3B14004 1802D96C
	v_pk_mul_f32 v[6:7], v[110:111], v[110:111]                // 000000005DFC: D3B14006 1802DD6E
	v_pk_fma_f32 v[4:5], v[4:5], s[78:79], v[8:9]              // 000000005E04: D3B04004 1C209D04
	v_pk_fma_f32 v[6:7], v[6:7], s[78:79], v[8:9]              // 000000005E0C: D3B04006 1C209D06
	v_pk_mul_f32 v[4:5], v[4:5], v[108:109]                    // 000000005E14: D3B14004 1802D904
	v_pk_mul_f32 v[6:7], v[6:7], v[110:111]                    // 000000005E1C: D3B14006 1802DD06
	v_pk_mul_f32 v[4:5], v[4:5], s[60:61]                      // 000000005E24: D3B14004 18007904
	v_pk_mul_f32 v[6:7], v[6:7], s[60:61]                      // 000000005E2C: D3B14006 18007906
	v_exp_f32_e32 v4, v4                                       // 000000005E34: 7E084104
	v_exp_f32_e32 v5, v5                                       // 000000005E38: 7E0A4105
	v_exp_f32_e32 v6, v6                                       // 000000005E3C: 7E0C4106
	v_exp_f32_e32 v7, v7                                       // 000000005E40: 7E0E4107
	v_add_f32_e64 v4, v4, 1.0                                  // 000000005E44: D1010004 0001E504
	v_add_f32_e64 v5, v5, 1.0                                  // 000000005E4C: D1010005 0001E505
	v_add_f32_e64 v6, v6, 1.0                                  // 000000005E54: D1010006 0001E506
	v_add_f32_e64 v7, v7, 1.0                                  // 000000005E5C: D1010007 0001E507
	v_rcp_f32_e32 v4, v4                                       // 000000005E64: 7E084504
	v_rcp_f32_e32 v5, v5                                       // 000000005E68: 7E0A4505
	v_rcp_f32_e32 v6, v6                                       // 000000005E6C: 7E0C4506
	v_rcp_f32_e32 v7, v7                                       // 000000005E70: 7E0E4507
	v_mul_f32_e32 v108, v108, v4                               // 000000005E74: 0AD8096C
	v_mul_f32_e32 v109, v109, v5                               // 000000005E78: 0ADA0B6D
	v_mul_f32_e32 v110, v110, v6                               // 000000005E7C: 0ADC0D6E
	v_mul_f32_e32 v111, v111, v7                               // 000000005E80: 0ADE0F6F
	v_mul_f32_e32 v108, v108, v148                             // 000000005E84: 0AD9296C
	v_mul_f32_e32 v109, v109, v149                             // 000000005E88: 0ADB2B6D
	v_mul_f32_e32 v110, v110, v150                             // 000000005E8C: 0ADD2D6E
	v_mul_f32_e32 v111, v111, v151                             // 000000005E90: 0ADF2F6F
	v_pk_mul_f32 v[4:5], v[112:113], v[112:113]                // 000000005E94: D3B14004 1802E170
	v_pk_mul_f32 v[6:7], v[114:115], v[114:115]                // 000000005E9C: D3B14006 1802E572
	v_pk_fma_f32 v[4:5], v[4:5], s[78:79], v[8:9]              // 000000005EA4: D3B04004 1C209D04
	v_pk_fma_f32 v[6:7], v[6:7], s[78:79], v[8:9]              // 000000005EAC: D3B04006 1C209D06
	v_pk_mul_f32 v[4:5], v[4:5], v[112:113]                    // 000000005EB4: D3B14004 1802E104
	v_pk_mul_f32 v[6:7], v[6:7], v[114:115]                    // 000000005EBC: D3B14006 1802E506
	v_pk_mul_f32 v[4:5], v[4:5], s[60:61]                      // 000000005EC4: D3B14004 18007904
	v_pk_mul_f32 v[6:7], v[6:7], s[60:61]                      // 000000005ECC: D3B14006 18007906
	v_exp_f32_e32 v4, v4                                       // 000000005ED4: 7E084104
	v_exp_f32_e32 v5, v5                                       // 000000005ED8: 7E0A4105
	v_exp_f32_e32 v6, v6                                       // 000000005EDC: 7E0C4106
	v_exp_f32_e32 v7, v7                                       // 000000005EE0: 7E0E4107
	v_add_f32_e64 v4, v4, 1.0                                  // 000000005EE4: D1010004 0001E504
	v_add_f32_e64 v5, v5, 1.0                                  // 000000005EEC: D1010005 0001E505
	v_add_f32_e64 v6, v6, 1.0                                  // 000000005EF4: D1010006 0001E506
	v_add_f32_e64 v7, v7, 1.0                                  // 000000005EFC: D1010007 0001E507
	v_rcp_f32_e32 v4, v4                                       // 000000005F04: 7E084504
	v_rcp_f32_e32 v5, v5                                       // 000000005F08: 7E0A4505
	v_rcp_f32_e32 v6, v6                                       // 000000005F0C: 7E0C4506
	v_rcp_f32_e32 v7, v7                                       // 000000005F10: 7E0E4507
	v_mul_f32_e32 v112, v112, v4                               // 000000005F14: 0AE00970
	v_mul_f32_e32 v113, v113, v5                               // 000000005F18: 0AE20B71
	v_mul_f32_e32 v114, v114, v6                               // 000000005F1C: 0AE40D72
	v_mul_f32_e32 v115, v115, v7                               // 000000005F20: 0AE60F73
	v_mul_f32_e32 v112, v112, v152                             // 000000005F24: 0AE13170
	v_mul_f32_e32 v113, v113, v153                             // 000000005F28: 0AE33371
	v_mul_f32_e32 v114, v114, v154                             // 000000005F2C: 0AE53572
	v_mul_f32_e32 v115, v115, v155                             // 000000005F30: 0AE73773
	v_pk_mul_f32 v[4:5], v[116:117], v[116:117]                // 000000005F34: D3B14004 1802E974
	v_pk_mul_f32 v[6:7], v[118:119], v[118:119]                // 000000005F3C: D3B14006 1802ED76
	v_pk_fma_f32 v[4:5], v[4:5], s[78:79], v[8:9]              // 000000005F44: D3B04004 1C209D04
	v_pk_fma_f32 v[6:7], v[6:7], s[78:79], v[8:9]              // 000000005F4C: D3B04006 1C209D06
	v_pk_mul_f32 v[4:5], v[4:5], v[116:117]                    // 000000005F54: D3B14004 1802E904
	v_pk_mul_f32 v[6:7], v[6:7], v[118:119]                    // 000000005F5C: D3B14006 1802ED06
	v_pk_mul_f32 v[4:5], v[4:5], s[60:61]                      // 000000005F64: D3B14004 18007904
	v_pk_mul_f32 v[6:7], v[6:7], s[60:61]                      // 000000005F6C: D3B14006 18007906
	v_exp_f32_e32 v4, v4                                       // 000000005F74: 7E084104
	v_exp_f32_e32 v5, v5                                       // 000000005F78: 7E0A4105
	v_exp_f32_e32 v6, v6                                       // 000000005F7C: 7E0C4106
	v_exp_f32_e32 v7, v7                                       // 000000005F80: 7E0E4107
	v_add_f32_e64 v4, v4, 1.0                                  // 000000005F84: D1010004 0001E504
	v_add_f32_e64 v5, v5, 1.0                                  // 000000005F8C: D1010005 0001E505
	v_add_f32_e64 v6, v6, 1.0                                  // 000000005F94: D1010006 0001E506
	v_add_f32_e64 v7, v7, 1.0                                  // 000000005F9C: D1010007 0001E507
	v_rcp_f32_e32 v4, v4                                       // 000000005FA4: 7E084504
	v_rcp_f32_e32 v5, v5                                       // 000000005FA8: 7E0A4505
	v_rcp_f32_e32 v6, v6                                       // 000000005FAC: 7E0C4506
	v_rcp_f32_e32 v7, v7                                       // 000000005FB0: 7E0E4507
	v_mul_f32_e32 v116, v116, v4                               // 000000005FB4: 0AE80974
	v_mul_f32_e32 v117, v117, v5                               // 000000005FB8: 0AEA0B75
	v_mul_f32_e32 v118, v118, v6                               // 000000005FBC: 0AEC0D76
	v_mul_f32_e32 v119, v119, v7                               // 000000005FC0: 0AEE0F77
	v_mul_f32_e32 v116, v116, v156                             // 000000005FC4: 0AE93974
	v_mul_f32_e32 v117, v117, v157                             // 000000005FC8: 0AEB3B75
	v_mul_f32_e32 v118, v118, v158                             // 000000005FCC: 0AED3D76
	v_mul_f32_e32 v119, v119, v159                             // 000000005FD0: 0AEF3F77
	v_pk_mul_f32 v[4:5], v[120:121], v[120:121]                // 000000005FD4: D3B14004 1802F178
	v_pk_mul_f32 v[6:7], v[122:123], v[122:123]                // 000000005FDC: D3B14006 1802F57A
	v_pk_fma_f32 v[4:5], v[4:5], s[78:79], v[8:9]              // 000000005FE4: D3B04004 1C209D04
	v_pk_fma_f32 v[6:7], v[6:7], s[78:79], v[8:9]              // 000000005FEC: D3B04006 1C209D06
	v_pk_mul_f32 v[4:5], v[4:5], v[120:121]                    // 000000005FF4: D3B14004 1802F104
	v_pk_mul_f32 v[6:7], v[6:7], v[122:123]                    // 000000005FFC: D3B14006 1802F506
	v_pk_mul_f32 v[4:5], v[4:5], s[60:61]                      // 000000006004: D3B14004 18007904
	v_pk_mul_f32 v[6:7], v[6:7], s[60:61]                      // 00000000600C: D3B14006 18007906
	v_exp_f32_e32 v4, v4                                       // 000000006014: 7E084104
	v_exp_f32_e32 v5, v5                                       // 000000006018: 7E0A4105
	v_exp_f32_e32 v6, v6                                       // 00000000601C: 7E0C4106
	v_exp_f32_e32 v7, v7                                       // 000000006020: 7E0E4107
	v_add_f32_e64 v4, v4, 1.0                                  // 000000006024: D1010004 0001E504
	v_add_f32_e64 v5, v5, 1.0                                  // 00000000602C: D1010005 0001E505
	v_add_f32_e64 v6, v6, 1.0                                  // 000000006034: D1010006 0001E506
	v_add_f32_e64 v7, v7, 1.0                                  // 00000000603C: D1010007 0001E507
	v_rcp_f32_e32 v4, v4                                       // 000000006044: 7E084504
	v_rcp_f32_e32 v5, v5                                       // 000000006048: 7E0A4505
	v_rcp_f32_e32 v6, v6                                       // 00000000604C: 7E0C4506
	v_rcp_f32_e32 v7, v7                                       // 000000006050: 7E0E4507
	v_mul_f32_e32 v120, v120, v4                               // 000000006054: 0AF00978
	v_mul_f32_e32 v121, v121, v5                               // 000000006058: 0AF20B79
	v_mul_f32_e32 v122, v122, v6                               // 00000000605C: 0AF40D7A
	v_mul_f32_e32 v123, v123, v7                               // 000000006060: 0AF60F7B
	v_mul_f32_e32 v120, v120, v160                             // 000000006064: 0AF14178
	v_mul_f32_e32 v121, v121, v161                             // 000000006068: 0AF34379
	v_mul_f32_e32 v122, v122, v162                             // 00000000606C: 0AF5457A
	v_mul_f32_e32 v123, v123, v163                             // 000000006070: 0AF7477B
	v_pk_mul_f32 v[4:5], v[124:125], v[124:125]                // 000000006074: D3B14004 1802F97C
	v_pk_mul_f32 v[6:7], v[126:127], v[126:127]                // 00000000607C: D3B14006 1802FD7E
	v_pk_fma_f32 v[4:5], v[4:5], s[78:79], v[8:9]              // 000000006084: D3B04004 1C209D04
	v_pk_fma_f32 v[6:7], v[6:7], s[78:79], v[8:9]              // 00000000608C: D3B04006 1C209D06
	v_pk_mul_f32 v[4:5], v[4:5], v[124:125]                    // 000000006094: D3B14004 1802F904
	v_pk_mul_f32 v[6:7], v[6:7], v[126:127]                    // 00000000609C: D3B14006 1802FD06
	v_pk_mul_f32 v[4:5], v[4:5], s[60:61]                      // 0000000060A4: D3B14004 18007904
	v_pk_mul_f32 v[6:7], v[6:7], s[60:61]                      // 0000000060AC: D3B14006 18007906
	v_exp_f32_e32 v4, v4                                       // 0000000060B4: 7E084104
	v_exp_f32_e32 v5, v5                                       // 0000000060B8: 7E0A4105
	v_exp_f32_e32 v6, v6                                       // 0000000060BC: 7E0C4106
	v_exp_f32_e32 v7, v7                                       // 0000000060C0: 7E0E4107
	v_add_f32_e64 v4, v4, 1.0                                  // 0000000060C4: D1010004 0001E504
	v_add_f32_e64 v5, v5, 1.0                                  // 0000000060CC: D1010005 0001E505
	v_add_f32_e64 v6, v6, 1.0                                  // 0000000060D4: D1010006 0001E506
	v_add_f32_e64 v7, v7, 1.0                                  // 0000000060DC: D1010007 0001E507
	v_rcp_f32_e32 v4, v4                                       // 0000000060E4: 7E084504
	v_rcp_f32_e32 v5, v5                                       // 0000000060E8: 7E0A4505
	v_rcp_f32_e32 v6, v6                                       // 0000000060EC: 7E0C4506
	v_rcp_f32_e32 v7, v7                                       // 0000000060F0: 7E0E4507
	v_mul_f32_e32 v124, v124, v4                               // 0000000060F4: 0AF8097C
	v_mul_f32_e32 v125, v125, v5                               // 0000000060F8: 0AFA0B7D
	v_mul_f32_e32 v126, v126, v6                               // 0000000060FC: 0AFC0D7E
	v_mul_f32_e32 v127, v127, v7                               // 000000006100: 0AFE0F7F
	v_mul_f32_e32 v124, v124, v164                             // 000000006104: 0AF9497C
	v_mul_f32_e32 v125, v125, v165                             // 000000006108: 0AFB4B7D
	v_mul_f32_e32 v126, v126, v166                             // 00000000610C: 0AFD4D7E
	v_mul_f32_e32 v127, v127, v167                             // 000000006110: 0AFF4F7F
	v_pk_mul_f32 v[4:5], v[128:129], v[128:129]                // 000000006114: D3B14004 18030180
	v_pk_mul_f32 v[6:7], v[130:131], v[130:131]                // 00000000611C: D3B14006 18030582
	v_pk_fma_f32 v[4:5], v[4:5], s[78:79], v[8:9]              // 000000006124: D3B04004 1C209D04
	v_pk_fma_f32 v[6:7], v[6:7], s[78:79], v[8:9]              // 00000000612C: D3B04006 1C209D06
	v_pk_mul_f32 v[4:5], v[4:5], v[128:129]                    // 000000006134: D3B14004 18030104
	v_pk_mul_f32 v[6:7], v[6:7], v[130:131]                    // 00000000613C: D3B14006 18030506
	v_pk_mul_f32 v[4:5], v[4:5], s[60:61]                      // 000000006144: D3B14004 18007904
	v_pk_mul_f32 v[6:7], v[6:7], s[60:61]                      // 00000000614C: D3B14006 18007906
	v_exp_f32_e32 v4, v4                                       // 000000006154: 7E084104
	v_exp_f32_e32 v5, v5                                       // 000000006158: 7E0A4105
	v_exp_f32_e32 v6, v6                                       // 00000000615C: 7E0C4106
	v_exp_f32_e32 v7, v7                                       // 000000006160: 7E0E4107
	v_add_f32_e64 v4, v4, 1.0                                  // 000000006164: D1010004 0001E504
	v_add_f32_e64 v5, v5, 1.0                                  // 00000000616C: D1010005 0001E505
	v_add_f32_e64 v6, v6, 1.0                                  // 000000006174: D1010006 0001E506
	v_add_f32_e64 v7, v7, 1.0                                  // 00000000617C: D1010007 0001E507
	v_rcp_f32_e32 v4, v4                                       // 000000006184: 7E084504
	v_rcp_f32_e32 v5, v5                                       // 000000006188: 7E0A4505
	v_rcp_f32_e32 v6, v6                                       // 00000000618C: 7E0C4506
	v_rcp_f32_e32 v7, v7                                       // 000000006190: 7E0E4507
	v_mul_f32_e32 v128, v128, v4                               // 000000006194: 0B000980
	v_mul_f32_e32 v129, v129, v5                               // 000000006198: 0B020B81
	v_mul_f32_e32 v130, v130, v6                               // 00000000619C: 0B040D82
	v_mul_f32_e32 v131, v131, v7                               // 0000000061A0: 0B060F83
	v_mul_f32_e32 v128, v128, v168                             // 0000000061A4: 0B015180
	v_mul_f32_e32 v129, v129, v169                             // 0000000061A8: 0B035381
	v_mul_f32_e32 v130, v130, v170                             // 0000000061AC: 0B055582
	v_mul_f32_e32 v131, v131, v171                             // 0000000061B0: 0B075783
	s_branch label_0F2E                                        // 0000000061B4: BF820140

00000000000061b8 <label_0DEE>:
	v_mul_f32_e64 v4, -v92, s6                                 // 0000000061B8: D1050004 20000D5C
	v_mul_f32_e64 v5, -v93, s6                                 // 0000000061C0: D1050005 20000D5D
	v_mul_f32_e64 v6, -v94, s6                                 // 0000000061C8: D1050006 20000D5E
	v_mul_f32_e64 v7, -v95, s6                                 // 0000000061D0: D1050007 20000D5F
	v_exp_f32_e32 v4, v4                                       // 0000000061D8: 7E084104
	v_exp_f32_e32 v5, v5                                       // 0000000061DC: 7E0A4105
	v_exp_f32_e32 v6, v6                                       // 0000000061E0: 7E0C4106
	v_exp_f32_e32 v7, v7                                       // 0000000061E4: 7E0E4107
	v_add_f32_e64 v4, v4, 1.0                                  // 0000000061E8: D1010004 0001E504
	v_add_f32_e64 v5, v5, 1.0                                  // 0000000061F0: D1010005 0001E505
	v_add_f32_e64 v6, v6, 1.0                                  // 0000000061F8: D1010006 0001E506
	v_add_f32_e64 v7, v7, 1.0                                  // 000000006200: D1010007 0001E507
	v_rcp_f32_e32 v4, v4                                       // 000000006208: 7E084504
	v_rcp_f32_e32 v5, v5                                       // 00000000620C: 7E0A4505
	v_rcp_f32_e32 v6, v6                                       // 000000006210: 7E0C4506
	v_rcp_f32_e32 v7, v7                                       // 000000006214: 7E0E4507
	v_mul_f32_e32 v92, v92, v4                                 // 000000006218: 0AB8095C
	v_mul_f32_e32 v93, v93, v5                                 // 00000000621C: 0ABA0B5D
	v_mul_f32_e32 v94, v94, v6                                 // 000000006220: 0ABC0D5E
	v_mul_f32_e32 v95, v95, v7                                 // 000000006224: 0ABE0F5F
	v_mul_f32_e32 v92, v92, v132                               // 000000006228: 0AB9095C
	v_mul_f32_e32 v93, v93, v133                               // 00000000622C: 0ABB0B5D
	v_mul_f32_e32 v94, v94, v134                               // 000000006230: 0ABD0D5E
	v_mul_f32_e32 v95, v95, v135                               // 000000006234: 0ABF0F5F
	v_mul_f32_e64 v4, -v96, s6                                 // 000000006238: D1050004 20000D60
	v_mul_f32_e64 v5, -v97, s6                                 // 000000006240: D1050005 20000D61
	v_mul_f32_e64 v6, -v98, s6                                 // 000000006248: D1050006 20000D62
	v_mul_f32_e64 v7, -v99, s6                                 // 000000006250: D1050007 20000D63
	v_exp_f32_e32 v4, v4                                       // 000000006258: 7E084104
	v_exp_f32_e32 v5, v5                                       // 00000000625C: 7E0A4105
	v_exp_f32_e32 v6, v6                                       // 000000006260: 7E0C4106
	v_exp_f32_e32 v7, v7                                       // 000000006264: 7E0E4107
	v_add_f32_e64 v4, v4, 1.0                                  // 000000006268: D1010004 0001E504
	v_add_f32_e64 v5, v5, 1.0                                  // 000000006270: D1010005 0001E505
	v_add_f32_e64 v6, v6, 1.0                                  // 000000006278: D1010006 0001E506
	v_add_f32_e64 v7, v7, 1.0                                  // 000000006280: D1010007 0001E507
	v_rcp_f32_e32 v4, v4                                       // 000000006288: 7E084504
	v_rcp_f32_e32 v5, v5                                       // 00000000628C: 7E0A4505
	v_rcp_f32_e32 v6, v6                                       // 000000006290: 7E0C4506
	v_rcp_f32_e32 v7, v7                                       // 000000006294: 7E0E4507
	v_mul_f32_e32 v96, v96, v4                                 // 000000006298: 0AC00960
	v_mul_f32_e32 v97, v97, v5                                 // 00000000629C: 0AC20B61
	v_mul_f32_e32 v98, v98, v6                                 // 0000000062A0: 0AC40D62
	v_mul_f32_e32 v99, v99, v7                                 // 0000000062A4: 0AC60F63
	v_mul_f32_e32 v96, v96, v136                               // 0000000062A8: 0AC11160
	v_mul_f32_e32 v97, v97, v137                               // 0000000062AC: 0AC31361
	v_mul_f32_e32 v98, v98, v138                               // 0000000062B0: 0AC51562
	v_mul_f32_e32 v99, v99, v139                               // 0000000062B4: 0AC71763
	v_mul_f32_e64 v4, -v100, s6                                // 0000000062B8: D1050004 20000D64
	v_mul_f32_e64 v5, -v101, s6                                // 0000000062C0: D1050005 20000D65
	v_mul_f32_e64 v6, -v102, s6                                // 0000000062C8: D1050006 20000D66
	v_mul_f32_e64 v7, -v103, s6                                // 0000000062D0: D1050007 20000D67
	v_exp_f32_e32 v4, v4                                       // 0000000062D8: 7E084104
	v_exp_f32_e32 v5, v5                                       // 0000000062DC: 7E0A4105
	v_exp_f32_e32 v6, v6                                       // 0000000062E0: 7E0C4106
	v_exp_f32_e32 v7, v7                                       // 0000000062E4: 7E0E4107
	v_add_f32_e64 v4, v4, 1.0                                  // 0000000062E8: D1010004 0001E504
	v_add_f32_e64 v5, v5, 1.0                                  // 0000000062F0: D1010005 0001E505
	v_add_f32_e64 v6, v6, 1.0                                  // 0000000062F8: D1010006 0001E506
	v_add_f32_e64 v7, v7, 1.0                                  // 000000006300: D1010007 0001E507
	v_rcp_f32_e32 v4, v4                                       // 000000006308: 7E084504
	v_rcp_f32_e32 v5, v5                                       // 00000000630C: 7E0A4505
	v_rcp_f32_e32 v6, v6                                       // 000000006310: 7E0C4506
	v_rcp_f32_e32 v7, v7                                       // 000000006314: 7E0E4507
	v_mul_f32_e32 v100, v100, v4                               // 000000006318: 0AC80964
	v_mul_f32_e32 v101, v101, v5                               // 00000000631C: 0ACA0B65
	v_mul_f32_e32 v102, v102, v6                               // 000000006320: 0ACC0D66
	v_mul_f32_e32 v103, v103, v7                               // 000000006324: 0ACE0F67
	v_mul_f32_e32 v100, v100, v140                             // 000000006328: 0AC91964
	v_mul_f32_e32 v101, v101, v141                             // 00000000632C: 0ACB1B65
	v_mul_f32_e32 v102, v102, v142                             // 000000006330: 0ACD1D66
	v_mul_f32_e32 v103, v103, v143                             // 000000006334: 0ACF1F67
	v_mul_f32_e64 v4, -v104, s6                                // 000000006338: D1050004 20000D68
	v_mul_f32_e64 v5, -v105, s6                                // 000000006340: D1050005 20000D69
	v_mul_f32_e64 v6, -v106, s6                                // 000000006348: D1050006 20000D6A
	v_mul_f32_e64 v7, -v107, s6                                // 000000006350: D1050007 20000D6B
	v_exp_f32_e32 v4, v4                                       // 000000006358: 7E084104
	v_exp_f32_e32 v5, v5                                       // 00000000635C: 7E0A4105
	v_exp_f32_e32 v6, v6                                       // 000000006360: 7E0C4106
	v_exp_f32_e32 v7, v7                                       // 000000006364: 7E0E4107
	v_add_f32_e64 v4, v4, 1.0                                  // 000000006368: D1010004 0001E504
	v_add_f32_e64 v5, v5, 1.0                                  // 000000006370: D1010005 0001E505
	v_add_f32_e64 v6, v6, 1.0                                  // 000000006378: D1010006 0001E506
	v_add_f32_e64 v7, v7, 1.0                                  // 000000006380: D1010007 0001E507
	v_rcp_f32_e32 v4, v4                                       // 000000006388: 7E084504
	v_rcp_f32_e32 v5, v5                                       // 00000000638C: 7E0A4505
	v_rcp_f32_e32 v6, v6                                       // 000000006390: 7E0C4506
	v_rcp_f32_e32 v7, v7                                       // 000000006394: 7E0E4507
	v_mul_f32_e32 v104, v104, v4                               // 000000006398: 0AD00968
	v_mul_f32_e32 v105, v105, v5                               // 00000000639C: 0AD20B69
	v_mul_f32_e32 v106, v106, v6                               // 0000000063A0: 0AD40D6A
	v_mul_f32_e32 v107, v107, v7                               // 0000000063A4: 0AD60F6B
	v_mul_f32_e32 v104, v104, v144                             // 0000000063A8: 0AD12168
	v_mul_f32_e32 v105, v105, v145                             // 0000000063AC: 0AD32369
	v_mul_f32_e32 v106, v106, v146                             // 0000000063B0: 0AD5256A
	v_mul_f32_e32 v107, v107, v147                             // 0000000063B4: 0AD7276B
	v_mul_f32_e64 v4, -v108, s6                                // 0000000063B8: D1050004 20000D6C
	v_mul_f32_e64 v5, -v109, s6                                // 0000000063C0: D1050005 20000D6D
	v_mul_f32_e64 v6, -v110, s6                                // 0000000063C8: D1050006 20000D6E
	v_mul_f32_e64 v7, -v111, s6                                // 0000000063D0: D1050007 20000D6F
	v_exp_f32_e32 v4, v4                                       // 0000000063D8: 7E084104
	v_exp_f32_e32 v5, v5                                       // 0000000063DC: 7E0A4105
	v_exp_f32_e32 v6, v6                                       // 0000000063E0: 7E0C4106
	v_exp_f32_e32 v7, v7                                       // 0000000063E4: 7E0E4107
	v_add_f32_e64 v4, v4, 1.0                                  // 0000000063E8: D1010004 0001E504
	v_add_f32_e64 v5, v5, 1.0                                  // 0000000063F0: D1010005 0001E505
	v_add_f32_e64 v6, v6, 1.0                                  // 0000000063F8: D1010006 0001E506
	v_add_f32_e64 v7, v7, 1.0                                  // 000000006400: D1010007 0001E507
	v_rcp_f32_e32 v4, v4                                       // 000000006408: 7E084504
	v_rcp_f32_e32 v5, v5                                       // 00000000640C: 7E0A4505
	v_rcp_f32_e32 v6, v6                                       // 000000006410: 7E0C4506
	v_rcp_f32_e32 v7, v7                                       // 000000006414: 7E0E4507
	v_mul_f32_e32 v108, v108, v4                               // 000000006418: 0AD8096C
	v_mul_f32_e32 v109, v109, v5                               // 00000000641C: 0ADA0B6D
	v_mul_f32_e32 v110, v110, v6                               // 000000006420: 0ADC0D6E
	v_mul_f32_e32 v111, v111, v7                               // 000000006424: 0ADE0F6F
	v_mul_f32_e32 v108, v108, v148                             // 000000006428: 0AD9296C
	v_mul_f32_e32 v109, v109, v149                             // 00000000642C: 0ADB2B6D
	v_mul_f32_e32 v110, v110, v150                             // 000000006430: 0ADD2D6E
	v_mul_f32_e32 v111, v111, v151                             // 000000006434: 0ADF2F6F
	v_mul_f32_e64 v4, -v112, s6                                // 000000006438: D1050004 20000D70
	v_mul_f32_e64 v5, -v113, s6                                // 000000006440: D1050005 20000D71
	v_mul_f32_e64 v6, -v114, s6                                // 000000006448: D1050006 20000D72
	v_mul_f32_e64 v7, -v115, s6                                // 000000006450: D1050007 20000D73
	v_exp_f32_e32 v4, v4                                       // 000000006458: 7E084104
	v_exp_f32_e32 v5, v5                                       // 00000000645C: 7E0A4105
	v_exp_f32_e32 v6, v6                                       // 000000006460: 7E0C4106
	v_exp_f32_e32 v7, v7                                       // 000000006464: 7E0E4107
	v_add_f32_e64 v4, v4, 1.0                                  // 000000006468: D1010004 0001E504
	v_add_f32_e64 v5, v5, 1.0                                  // 000000006470: D1010005 0001E505
	v_add_f32_e64 v6, v6, 1.0                                  // 000000006478: D1010006 0001E506
	v_add_f32_e64 v7, v7, 1.0                                  // 000000006480: D1010007 0001E507
	v_rcp_f32_e32 v4, v4                                       // 000000006488: 7E084504
	v_rcp_f32_e32 v5, v5                                       // 00000000648C: 7E0A4505
	v_rcp_f32_e32 v6, v6                                       // 000000006490: 7E0C4506
	v_rcp_f32_e32 v7, v7                                       // 000000006494: 7E0E4507
	v_mul_f32_e32 v112, v112, v4                               // 000000006498: 0AE00970
	v_mul_f32_e32 v113, v113, v5                               // 00000000649C: 0AE20B71
	v_mul_f32_e32 v114, v114, v6                               // 0000000064A0: 0AE40D72
	v_mul_f32_e32 v115, v115, v7                               // 0000000064A4: 0AE60F73
	v_mul_f32_e32 v112, v112, v152                             // 0000000064A8: 0AE13170
	v_mul_f32_e32 v113, v113, v153                             // 0000000064AC: 0AE33371
	v_mul_f32_e32 v114, v114, v154                             // 0000000064B0: 0AE53572
	v_mul_f32_e32 v115, v115, v155                             // 0000000064B4: 0AE73773
	v_mul_f32_e64 v4, -v116, s6                                // 0000000064B8: D1050004 20000D74
	v_mul_f32_e64 v5, -v117, s6                                // 0000000064C0: D1050005 20000D75
	v_mul_f32_e64 v6, -v118, s6                                // 0000000064C8: D1050006 20000D76
	v_mul_f32_e64 v7, -v119, s6                                // 0000000064D0: D1050007 20000D77
	v_exp_f32_e32 v4, v4                                       // 0000000064D8: 7E084104
	v_exp_f32_e32 v5, v5                                       // 0000000064DC: 7E0A4105
	v_exp_f32_e32 v6, v6                                       // 0000000064E0: 7E0C4106
	v_exp_f32_e32 v7, v7                                       // 0000000064E4: 7E0E4107
	v_add_f32_e64 v4, v4, 1.0                                  // 0000000064E8: D1010004 0001E504
	v_add_f32_e64 v5, v5, 1.0                                  // 0000000064F0: D1010005 0001E505
	v_add_f32_e64 v6, v6, 1.0                                  // 0000000064F8: D1010006 0001E506
	v_add_f32_e64 v7, v7, 1.0                                  // 000000006500: D1010007 0001E507
	v_rcp_f32_e32 v4, v4                                       // 000000006508: 7E084504
	v_rcp_f32_e32 v5, v5                                       // 00000000650C: 7E0A4505
	v_rcp_f32_e32 v6, v6                                       // 000000006510: 7E0C4506
	v_rcp_f32_e32 v7, v7                                       // 000000006514: 7E0E4507
	v_mul_f32_e32 v116, v116, v4                               // 000000006518: 0AE80974
	v_mul_f32_e32 v117, v117, v5                               // 00000000651C: 0AEA0B75
	v_mul_f32_e32 v118, v118, v6                               // 000000006520: 0AEC0D76
	v_mul_f32_e32 v119, v119, v7                               // 000000006524: 0AEE0F77
	v_mul_f32_e32 v116, v116, v156                             // 000000006528: 0AE93974
	v_mul_f32_e32 v117, v117, v157                             // 00000000652C: 0AEB3B75
	v_mul_f32_e32 v118, v118, v158                             // 000000006530: 0AED3D76
	v_mul_f32_e32 v119, v119, v159                             // 000000006534: 0AEF3F77
	v_mul_f32_e64 v4, -v120, s6                                // 000000006538: D1050004 20000D78
	v_mul_f32_e64 v5, -v121, s6                                // 000000006540: D1050005 20000D79
	v_mul_f32_e64 v6, -v122, s6                                // 000000006548: D1050006 20000D7A
	v_mul_f32_e64 v7, -v123, s6                                // 000000006550: D1050007 20000D7B
	v_exp_f32_e32 v4, v4                                       // 000000006558: 7E084104
	v_exp_f32_e32 v5, v5                                       // 00000000655C: 7E0A4105
	v_exp_f32_e32 v6, v6                                       // 000000006560: 7E0C4106
	v_exp_f32_e32 v7, v7                                       // 000000006564: 7E0E4107
	v_add_f32_e64 v4, v4, 1.0                                  // 000000006568: D1010004 0001E504
	v_add_f32_e64 v5, v5, 1.0                                  // 000000006570: D1010005 0001E505
	v_add_f32_e64 v6, v6, 1.0                                  // 000000006578: D1010006 0001E506
	v_add_f32_e64 v7, v7, 1.0                                  // 000000006580: D1010007 0001E507
	v_rcp_f32_e32 v4, v4                                       // 000000006588: 7E084504
	v_rcp_f32_e32 v5, v5                                       // 00000000658C: 7E0A4505
	v_rcp_f32_e32 v6, v6                                       // 000000006590: 7E0C4506
	v_rcp_f32_e32 v7, v7                                       // 000000006594: 7E0E4507
	v_mul_f32_e32 v120, v120, v4                               // 000000006598: 0AF00978
	v_mul_f32_e32 v121, v121, v5                               // 00000000659C: 0AF20B79
	v_mul_f32_e32 v122, v122, v6                               // 0000000065A0: 0AF40D7A
	v_mul_f32_e32 v123, v123, v7                               // 0000000065A4: 0AF60F7B
	v_mul_f32_e32 v120, v120, v160                             // 0000000065A8: 0AF14178
	v_mul_f32_e32 v121, v121, v161                             // 0000000065AC: 0AF34379
	v_mul_f32_e32 v122, v122, v162                             // 0000000065B0: 0AF5457A
	v_mul_f32_e32 v123, v123, v163                             // 0000000065B4: 0AF7477B
	v_mul_f32_e64 v4, -v124, s6                                // 0000000065B8: D1050004 20000D7C
	v_mul_f32_e64 v5, -v125, s6                                // 0000000065C0: D1050005 20000D7D
	v_mul_f32_e64 v6, -v126, s6                                // 0000000065C8: D1050006 20000D7E
	v_mul_f32_e64 v7, -v127, s6                                // 0000000065D0: D1050007 20000D7F
	v_exp_f32_e32 v4, v4                                       // 0000000065D8: 7E084104
	v_exp_f32_e32 v5, v5                                       // 0000000065DC: 7E0A4105
	v_exp_f32_e32 v6, v6                                       // 0000000065E0: 7E0C4106
	v_exp_f32_e32 v7, v7                                       // 0000000065E4: 7E0E4107
	v_add_f32_e64 v4, v4, 1.0                                  // 0000000065E8: D1010004 0001E504
	v_add_f32_e64 v5, v5, 1.0                                  // 0000000065F0: D1010005 0001E505
	v_add_f32_e64 v6, v6, 1.0                                  // 0000000065F8: D1010006 0001E506
	v_add_f32_e64 v7, v7, 1.0                                  // 000000006600: D1010007 0001E507
	v_rcp_f32_e32 v4, v4                                       // 000000006608: 7E084504
	v_rcp_f32_e32 v5, v5                                       // 00000000660C: 7E0A4505
	v_rcp_f32_e32 v6, v6                                       // 000000006610: 7E0C4506
	v_rcp_f32_e32 v7, v7                                       // 000000006614: 7E0E4507
	v_mul_f32_e32 v124, v124, v4                               // 000000006618: 0AF8097C
	v_mul_f32_e32 v125, v125, v5                               // 00000000661C: 0AFA0B7D
	v_mul_f32_e32 v126, v126, v6                               // 000000006620: 0AFC0D7E
	v_mul_f32_e32 v127, v127, v7                               // 000000006624: 0AFE0F7F
	v_mul_f32_e32 v124, v124, v164                             // 000000006628: 0AF9497C
	v_mul_f32_e32 v125, v125, v165                             // 00000000662C: 0AFB4B7D
	v_mul_f32_e32 v126, v126, v166                             // 000000006630: 0AFD4D7E
	v_mul_f32_e32 v127, v127, v167                             // 000000006634: 0AFF4F7F
	v_mul_f32_e64 v4, -v128, s6                                // 000000006638: D1050004 20000D80
	v_mul_f32_e64 v5, -v129, s6                                // 000000006640: D1050005 20000D81
	v_mul_f32_e64 v6, -v130, s6                                // 000000006648: D1050006 20000D82
	v_mul_f32_e64 v7, -v131, s6                                // 000000006650: D1050007 20000D83
	v_exp_f32_e32 v4, v4                                       // 000000006658: 7E084104
	v_exp_f32_e32 v5, v5                                       // 00000000665C: 7E0A4105
	v_exp_f32_e32 v6, v6                                       // 000000006660: 7E0C4106
	v_exp_f32_e32 v7, v7                                       // 000000006664: 7E0E4107
	v_add_f32_e64 v4, v4, 1.0                                  // 000000006668: D1010004 0001E504
	v_add_f32_e64 v5, v5, 1.0                                  // 000000006670: D1010005 0001E505
	v_add_f32_e64 v6, v6, 1.0                                  // 000000006678: D1010006 0001E506
	v_add_f32_e64 v7, v7, 1.0                                  // 000000006680: D1010007 0001E507
	v_rcp_f32_e32 v4, v4                                       // 000000006688: 7E084504
	v_rcp_f32_e32 v5, v5                                       // 00000000668C: 7E0A4505
	v_rcp_f32_e32 v6, v6                                       // 000000006690: 7E0C4506
	v_rcp_f32_e32 v7, v7                                       // 000000006694: 7E0E4507
	v_mul_f32_e32 v128, v128, v4                               // 000000006698: 0B000980
	v_mul_f32_e32 v129, v129, v5                               // 00000000669C: 0B020B81
	v_mul_f32_e32 v130, v130, v6                               // 0000000066A0: 0B040D82
	v_mul_f32_e32 v131, v131, v7                               // 0000000066A4: 0B060F83
	v_mul_f32_e32 v128, v128, v168                             // 0000000066A8: 0B015180
	v_mul_f32_e32 v129, v129, v169                             // 0000000066AC: 0B035381
	v_mul_f32_e32 v130, v130, v170                             // 0000000066B0: 0B055582
	v_mul_f32_e32 v131, v131, v171                             // 0000000066B4: 0B075783

00000000000066b8 <label_0F2E>:
	v_cmp_u_f32_e64 s[46:47], v92, v92                         // 0000000066B8: D048002E 0002B95C
	v_add3_u32 v16, v92, v19, 1                                // 0000000066C0: D1FF0010 0206275C
	v_cndmask_b32_e64 v4, v16, v18, s[46:47]                   // 0000000066C8: D1000004 00BA2510
	v_cmp_u_f32_e64 s[46:47], v93, v93                         // 0000000066D0: D048002E 0002BB5D
	v_add3_u32 v16, v93, v19, 1                                // 0000000066D8: D1FF0010 0206275D
	v_cndmask_b32_e64 v5, v16, v18, s[46:47]                   // 0000000066E0: D1000005 00BA2510
	v_perm_b32 v92, v5, v4, s52                                // 0000000066E8: D1ED005C 00D20905
	v_cmp_u_f32_e64 s[46:47], v94, v94                         // 0000000066F0: D048002E 0002BD5E
	v_add3_u32 v16, v94, v19, 1                                // 0000000066F8: D1FF0010 0206275E
	v_cndmask_b32_e64 v4, v16, v18, s[46:47]                   // 000000006700: D1000004 00BA2510
	v_cmp_u_f32_e64 s[46:47], v95, v95                         // 000000006708: D048002E 0002BF5F
	v_add3_u32 v16, v95, v19, 1                                // 000000006710: D1FF0010 0206275F
	v_cndmask_b32_e64 v5, v16, v18, s[46:47]                   // 000000006718: D1000005 00BA2510
	v_perm_b32 v93, v5, v4, s52                                // 000000006720: D1ED005D 00D20905
	v_cmp_u_f32_e64 s[46:47], v96, v96                         // 000000006728: D048002E 0002C160
	v_add3_u32 v16, v96, v19, 1                                // 000000006730: D1FF0010 02062760
	v_cndmask_b32_e64 v4, v16, v18, s[46:47]                   // 000000006738: D1000004 00BA2510
	v_cmp_u_f32_e64 s[46:47], v97, v97                         // 000000006740: D048002E 0002C361
	v_add3_u32 v16, v97, v19, 1                                // 000000006748: D1FF0010 02062761
	v_cndmask_b32_e64 v5, v16, v18, s[46:47]                   // 000000006750: D1000005 00BA2510
	v_perm_b32 v94, v5, v4, s52                                // 000000006758: D1ED005E 00D20905
	v_cmp_u_f32_e64 s[46:47], v98, v98                         // 000000006760: D048002E 0002C562
	v_add3_u32 v16, v98, v19, 1                                // 000000006768: D1FF0010 02062762
	v_cndmask_b32_e64 v4, v16, v18, s[46:47]                   // 000000006770: D1000004 00BA2510
	v_cmp_u_f32_e64 s[46:47], v99, v99                         // 000000006778: D048002E 0002C763
	v_add3_u32 v16, v99, v19, 1                                // 000000006780: D1FF0010 02062763
	v_cndmask_b32_e64 v5, v16, v18, s[46:47]                   // 000000006788: D1000005 00BA2510
	v_perm_b32 v95, v5, v4, s52                                // 000000006790: D1ED005F 00D20905
	v_cmp_u_f32_e64 s[46:47], v100, v100                       // 000000006798: D048002E 0002C964
	v_add3_u32 v16, v100, v19, 1                               // 0000000067A0: D1FF0010 02062764
	v_cndmask_b32_e64 v4, v16, v18, s[46:47]                   // 0000000067A8: D1000004 00BA2510
	v_cmp_u_f32_e64 s[46:47], v101, v101                       // 0000000067B0: D048002E 0002CB65
	v_add3_u32 v16, v101, v19, 1                               // 0000000067B8: D1FF0010 02062765
	v_cndmask_b32_e64 v5, v16, v18, s[46:47]                   // 0000000067C0: D1000005 00BA2510
	v_perm_b32 v96, v5, v4, s52                                // 0000000067C8: D1ED0060 00D20905
	v_cmp_u_f32_e64 s[46:47], v102, v102                       // 0000000067D0: D048002E 0002CD66
	v_add3_u32 v16, v102, v19, 1                               // 0000000067D8: D1FF0010 02062766
	v_cndmask_b32_e64 v4, v16, v18, s[46:47]                   // 0000000067E0: D1000004 00BA2510
	v_cmp_u_f32_e64 s[46:47], v103, v103                       // 0000000067E8: D048002E 0002CF67
	v_add3_u32 v16, v103, v19, 1                               // 0000000067F0: D1FF0010 02062767
	v_cndmask_b32_e64 v5, v16, v18, s[46:47]                   // 0000000067F8: D1000005 00BA2510
	v_perm_b32 v97, v5, v4, s52                                // 000000006800: D1ED0061 00D20905
	v_cmp_u_f32_e64 s[46:47], v104, v104                       // 000000006808: D048002E 0002D168
	v_add3_u32 v16, v104, v19, 1                               // 000000006810: D1FF0010 02062768
	v_cndmask_b32_e64 v4, v16, v18, s[46:47]                   // 000000006818: D1000004 00BA2510
	v_cmp_u_f32_e64 s[46:47], v105, v105                       // 000000006820: D048002E 0002D369
	v_add3_u32 v16, v105, v19, 1                               // 000000006828: D1FF0010 02062769
	v_cndmask_b32_e64 v5, v16, v18, s[46:47]                   // 000000006830: D1000005 00BA2510
	v_perm_b32 v98, v5, v4, s52                                // 000000006838: D1ED0062 00D20905
	v_cmp_u_f32_e64 s[46:47], v106, v106                       // 000000006840: D048002E 0002D56A
	v_add3_u32 v16, v106, v19, 1                               // 000000006848: D1FF0010 0206276A
	v_cndmask_b32_e64 v4, v16, v18, s[46:47]                   // 000000006850: D1000004 00BA2510
	v_cmp_u_f32_e64 s[46:47], v107, v107                       // 000000006858: D048002E 0002D76B
	v_add3_u32 v16, v107, v19, 1                               // 000000006860: D1FF0010 0206276B
	v_cndmask_b32_e64 v5, v16, v18, s[46:47]                   // 000000006868: D1000005 00BA2510
	v_perm_b32 v99, v5, v4, s52                                // 000000006870: D1ED0063 00D20905
	v_cmp_u_f32_e64 s[46:47], v108, v108                       // 000000006878: D048002E 0002D96C
	v_add3_u32 v16, v108, v19, 1                               // 000000006880: D1FF0010 0206276C
	v_cndmask_b32_e64 v4, v16, v18, s[46:47]                   // 000000006888: D1000004 00BA2510
	v_cmp_u_f32_e64 s[46:47], v109, v109                       // 000000006890: D048002E 0002DB6D
	v_add3_u32 v16, v109, v19, 1                               // 000000006898: D1FF0010 0206276D
	v_cndmask_b32_e64 v5, v16, v18, s[46:47]                   // 0000000068A0: D1000005 00BA2510
	v_perm_b32 v100, v5, v4, s52                               // 0000000068A8: D1ED0064 00D20905
	v_cmp_u_f32_e64 s[46:47], v110, v110                       // 0000000068B0: D048002E 0002DD6E
	v_add3_u32 v16, v110, v19, 1                               // 0000000068B8: D1FF0010 0206276E
	v_cndmask_b32_e64 v4, v16, v18, s[46:47]                   // 0000000068C0: D1000004 00BA2510
	v_cmp_u_f32_e64 s[46:47], v111, v111                       // 0000000068C8: D048002E 0002DF6F
	v_add3_u32 v16, v111, v19, 1                               // 0000000068D0: D1FF0010 0206276F
	v_cndmask_b32_e64 v5, v16, v18, s[46:47]                   // 0000000068D8: D1000005 00BA2510
	v_perm_b32 v101, v5, v4, s52                               // 0000000068E0: D1ED0065 00D20905
	v_cmp_u_f32_e64 s[46:47], v112, v112                       // 0000000068E8: D048002E 0002E170
	v_add3_u32 v16, v112, v19, 1                               // 0000000068F0: D1FF0010 02062770
	v_cndmask_b32_e64 v4, v16, v18, s[46:47]                   // 0000000068F8: D1000004 00BA2510
	v_cmp_u_f32_e64 s[46:47], v113, v113                       // 000000006900: D048002E 0002E371
	v_add3_u32 v16, v113, v19, 1                               // 000000006908: D1FF0010 02062771
	v_cndmask_b32_e64 v5, v16, v18, s[46:47]                   // 000000006910: D1000005 00BA2510
	v_perm_b32 v102, v5, v4, s52                               // 000000006918: D1ED0066 00D20905
	v_cmp_u_f32_e64 s[46:47], v114, v114                       // 000000006920: D048002E 0002E572
	v_add3_u32 v16, v114, v19, 1                               // 000000006928: D1FF0010 02062772
	v_cndmask_b32_e64 v4, v16, v18, s[46:47]                   // 000000006930: D1000004 00BA2510
	v_cmp_u_f32_e64 s[46:47], v115, v115                       // 000000006938: D048002E 0002E773
	v_add3_u32 v16, v115, v19, 1                               // 000000006940: D1FF0010 02062773
	v_cndmask_b32_e64 v5, v16, v18, s[46:47]                   // 000000006948: D1000005 00BA2510
	v_perm_b32 v103, v5, v4, s52                               // 000000006950: D1ED0067 00D20905
	v_cmp_u_f32_e64 s[46:47], v116, v116                       // 000000006958: D048002E 0002E974
	v_add3_u32 v16, v116, v19, 1                               // 000000006960: D1FF0010 02062774
	v_cndmask_b32_e64 v4, v16, v18, s[46:47]                   // 000000006968: D1000004 00BA2510
	v_cmp_u_f32_e64 s[46:47], v117, v117                       // 000000006970: D048002E 0002EB75
	v_add3_u32 v16, v117, v19, 1                               // 000000006978: D1FF0010 02062775
	v_cndmask_b32_e64 v5, v16, v18, s[46:47]                   // 000000006980: D1000005 00BA2510
	v_perm_b32 v104, v5, v4, s52                               // 000000006988: D1ED0068 00D20905
	v_cmp_u_f32_e64 s[46:47], v118, v118                       // 000000006990: D048002E 0002ED76
	v_add3_u32 v16, v118, v19, 1                               // 000000006998: D1FF0010 02062776
	v_cndmask_b32_e64 v4, v16, v18, s[46:47]                   // 0000000069A0: D1000004 00BA2510
	v_cmp_u_f32_e64 s[46:47], v119, v119                       // 0000000069A8: D048002E 0002EF77
	v_add3_u32 v16, v119, v19, 1                               // 0000000069B0: D1FF0010 02062777
	v_cndmask_b32_e64 v5, v16, v18, s[46:47]                   // 0000000069B8: D1000005 00BA2510
	v_perm_b32 v105, v5, v4, s52                               // 0000000069C0: D1ED0069 00D20905
	v_cmp_u_f32_e64 s[46:47], v120, v120                       // 0000000069C8: D048002E 0002F178
	v_add3_u32 v16, v120, v19, 1                               // 0000000069D0: D1FF0010 02062778
	v_cndmask_b32_e64 v4, v16, v18, s[46:47]                   // 0000000069D8: D1000004 00BA2510
	v_cmp_u_f32_e64 s[46:47], v121, v121                       // 0000000069E0: D048002E 0002F379
	v_add3_u32 v16, v121, v19, 1                               // 0000000069E8: D1FF0010 02062779
	v_cndmask_b32_e64 v5, v16, v18, s[46:47]                   // 0000000069F0: D1000005 00BA2510
	v_perm_b32 v106, v5, v4, s52                               // 0000000069F8: D1ED006A 00D20905
	v_cmp_u_f32_e64 s[46:47], v122, v122                       // 000000006A00: D048002E 0002F57A
	v_add3_u32 v16, v122, v19, 1                               // 000000006A08: D1FF0010 0206277A
	v_cndmask_b32_e64 v4, v16, v18, s[46:47]                   // 000000006A10: D1000004 00BA2510
	v_cmp_u_f32_e64 s[46:47], v123, v123                       // 000000006A18: D048002E 0002F77B
	v_add3_u32 v16, v123, v19, 1                               // 000000006A20: D1FF0010 0206277B
	v_cndmask_b32_e64 v5, v16, v18, s[46:47]                   // 000000006A28: D1000005 00BA2510
	v_perm_b32 v107, v5, v4, s52                               // 000000006A30: D1ED006B 00D20905
	v_cmp_u_f32_e64 s[46:47], v124, v124                       // 000000006A38: D048002E 0002F97C
	v_add3_u32 v16, v124, v19, 1                               // 000000006A40: D1FF0010 0206277C
	v_cndmask_b32_e64 v4, v16, v18, s[46:47]                   // 000000006A48: D1000004 00BA2510
	v_cmp_u_f32_e64 s[46:47], v125, v125                       // 000000006A50: D048002E 0002FB7D
	v_add3_u32 v16, v125, v19, 1                               // 000000006A58: D1FF0010 0206277D
	v_cndmask_b32_e64 v5, v16, v18, s[46:47]                   // 000000006A60: D1000005 00BA2510
	v_perm_b32 v108, v5, v4, s52                               // 000000006A68: D1ED006C 00D20905
	v_cmp_u_f32_e64 s[46:47], v126, v126                       // 000000006A70: D048002E 0002FD7E
	v_add3_u32 v16, v126, v19, 1                               // 000000006A78: D1FF0010 0206277E
	v_cndmask_b32_e64 v4, v16, v18, s[46:47]                   // 000000006A80: D1000004 00BA2510
	v_cmp_u_f32_e64 s[46:47], v127, v127                       // 000000006A88: D048002E 0002FF7F
	v_add3_u32 v16, v127, v19, 1                               // 000000006A90: D1FF0010 0206277F
	v_cndmask_b32_e64 v5, v16, v18, s[46:47]                   // 000000006A98: D1000005 00BA2510
	v_perm_b32 v109, v5, v4, s52                               // 000000006AA0: D1ED006D 00D20905
	v_cmp_u_f32_e64 s[46:47], v128, v128                       // 000000006AA8: D048002E 00030180
	v_add3_u32 v16, v128, v19, 1                               // 000000006AB0: D1FF0010 02062780
	v_cndmask_b32_e64 v4, v16, v18, s[46:47]                   // 000000006AB8: D1000004 00BA2510
	v_cmp_u_f32_e64 s[46:47], v129, v129                       // 000000006AC0: D048002E 00030381
	v_add3_u32 v16, v129, v19, 1                               // 000000006AC8: D1FF0010 02062781
	v_cndmask_b32_e64 v5, v16, v18, s[46:47]                   // 000000006AD0: D1000005 00BA2510
	v_perm_b32 v110, v5, v4, s52                               // 000000006AD8: D1ED006E 00D20905
	v_cmp_u_f32_e64 s[46:47], v130, v130                       // 000000006AE0: D048002E 00030582
	v_add3_u32 v16, v130, v19, 1                               // 000000006AE8: D1FF0010 02062782
	v_cndmask_b32_e64 v4, v16, v18, s[46:47]                   // 000000006AF0: D1000004 00BA2510
	v_cmp_u_f32_e64 s[46:47], v131, v131                       // 000000006AF8: D048002E 00030783
	v_add3_u32 v16, v131, v19, 1                               // 000000006B00: D1FF0010 02062783
	v_cndmask_b32_e64 v5, v16, v18, s[46:47]                   // 000000006B08: D1000005 00BA2510
	v_perm_b32 v111, v5, v4, s52                               // 000000006B10: D1ED006F 00D20905
	ds_write_b64 v20, v[92:93]                                 // 000000006B18: D89A0000 00005C14
	ds_write_b64 v20, v[94:95] offset:2176                     // 000000006B20: D89A0880 00005E14
	ds_write_b64 v20, v[96:97] offset:4352                     // 000000006B28: D89A1100 00006014
	ds_write_b64 v20, v[98:99] offset:6528                     // 000000006B30: D89A1980 00006214
	ds_write_b64 v20, v[100:101] offset:8704                   // 000000006B38: D89A2200 00006414
	ds_write_b64 v20, v[102:103] offset:10880                  // 000000006B40: D89A2A80 00006614
	ds_write_b64 v20, v[104:105] offset:13056                  // 000000006B48: D89A3300 00006814
	ds_write_b64 v20, v[106:107] offset:15232                  // 000000006B50: D89A3B80 00006A14
	ds_write_b64 v20, v[108:109] offset:17408                  // 000000006B58: D89A4400 00006C14
	ds_write_b64 v20, v[110:111] offset:19584                  // 000000006B60: D89A4C80 00006E14
	v_lshrrev_b32_e32 v4, 5, v0                                // 000000006B68: 20080085
	v_xor_b32_e32 v5, 1, v4                                    // 000000006B6C: 2A0A0881
	s_mul_i32 s60, s65, 2                                      // 000000006B70: 923C8241
	s_cmp_eq_u32 s88, 0                                        // 000000006B74: BF068058
	s_cselect_b32 s61, 1, 4                                    // 000000006B78: 853D8481
	s_mul_i32 s60, s61, s60                                    // 000000006B7C: 923C3C3D
	v_readlane_b32 s82, v3, 0                                  // 000000006B80: D2890052 00010103
	s_lshr_b32 s61, s82, 24                                    // 000000006B88: 8F3D9852
	s_and_b32 s82, s82, 0xffffff                               // 000000006B8C: 8652FF52 00FFFFFF
	s_mul_i32 s82, s82, s71                                    // 000000006B94: 92524752
	s_mul_i32 s61, s60, s61                                    // 000000006B98: 923D3D3C
	s_add_u32 s82, s82, s61                                    // 000000006B9C: 80523D52
	v_mul_lo_u32 v6, v5, s82                                   // 000000006BA0: D2850006 0000A505
	v_readlane_b32 s82, v3, 1                                  // 000000006BA8: D2890052 00010303
	s_lshr_b32 s61, s82, 24                                    // 000000006BB0: 8F3D9852
	s_and_b32 s82, s82, 0xffffff                               // 000000006BB4: 8652FF52 00FFFFFF
	s_mul_i32 s82, s82, s71                                    // 000000006BBC: 92524752
	s_mul_i32 s61, s60, s61                                    // 000000006BC0: 923D3D3C
	s_add_u32 s82, s82, s61                                    // 000000006BC4: 80523D52
	v_mul_lo_u32 v7, v4, s82                                   // 000000006BC8: D2850007 0000A504
	v_add_u32_e32 v70, v6, v7                                  // 000000006BD0: 688C0F06
	v_readlane_b32 s82, v3, 2                                  // 000000006BD4: D2890052 00010503
	s_lshr_b32 s61, s82, 24                                    // 000000006BDC: 8F3D9852
	s_and_b32 s82, s82, 0xffffff                               // 000000006BE0: 8652FF52 00FFFFFF
	s_mul_i32 s82, s82, s71                                    // 000000006BE8: 92524752
	s_mul_i32 s61, s60, s61                                    // 000000006BEC: 923D3D3C
	s_add_u32 s82, s82, s61                                    // 000000006BF0: 80523D52
	v_mul_lo_u32 v6, v5, s82                                   // 000000006BF4: D2850006 0000A505
	v_readlane_b32 s82, v3, 3                                  // 000000006BFC: D2890052 00010703
	s_lshr_b32 s61, s82, 24                                    // 000000006C04: 8F3D9852
	s_and_b32 s82, s82, 0xffffff                               // 000000006C08: 8652FF52 00FFFFFF
	s_mul_i32 s82, s82, s71                                    // 000000006C10: 92524752
	s_mul_i32 s61, s60, s61                                    // 000000006C14: 923D3D3C
	s_add_u32 s82, s82, s61                                    // 000000006C18: 80523D52
	v_mul_lo_u32 v7, v4, s82                                   // 000000006C1C: D2850007 0000A504
	v_add_u32_e32 v71, v6, v7                                  // 000000006C24: 688E0F06
	v_readlane_b32 s82, v3, 4                                  // 000000006C28: D2890052 00010903
	s_lshr_b32 s61, s82, 24                                    // 000000006C30: 8F3D9852
	s_and_b32 s82, s82, 0xffffff                               // 000000006C34: 8652FF52 00FFFFFF
	s_mul_i32 s82, s82, s71                                    // 000000006C3C: 92524752
	s_mul_i32 s61, s60, s61                                    // 000000006C40: 923D3D3C
	s_add_u32 s82, s82, s61                                    // 000000006C44: 80523D52
	v_mul_lo_u32 v6, v5, s82                                   // 000000006C48: D2850006 0000A505
	v_readlane_b32 s82, v3, 5                                  // 000000006C50: D2890052 00010B03
	s_lshr_b32 s61, s82, 24                                    // 000000006C58: 8F3D9852
	s_and_b32 s82, s82, 0xffffff                               // 000000006C5C: 8652FF52 00FFFFFF
	s_mul_i32 s82, s82, s71                                    // 000000006C64: 92524752
	s_mul_i32 s61, s60, s61                                    // 000000006C68: 923D3D3C
	s_add_u32 s82, s82, s61                                    // 000000006C6C: 80523D52
	v_mul_lo_u32 v7, v4, s82                                   // 000000006C70: D2850007 0000A504
	v_add_u32_e32 v72, v6, v7                                  // 000000006C78: 68900F06
	v_readlane_b32 s82, v3, 6                                  // 000000006C7C: D2890052 00010D03
	s_lshr_b32 s61, s82, 24                                    // 000000006C84: 8F3D9852
	s_and_b32 s82, s82, 0xffffff                               // 000000006C88: 8652FF52 00FFFFFF
	s_mul_i32 s82, s82, s71                                    // 000000006C90: 92524752
	s_mul_i32 s61, s60, s61                                    // 000000006C94: 923D3D3C
	s_add_u32 s82, s82, s61                                    // 000000006C98: 80523D52
	v_mul_lo_u32 v6, v5, s82                                   // 000000006C9C: D2850006 0000A505
	v_readlane_b32 s82, v3, 7                                  // 000000006CA4: D2890052 00010F03
	s_lshr_b32 s61, s82, 24                                    // 000000006CAC: 8F3D9852
	s_and_b32 s82, s82, 0xffffff                               // 000000006CB0: 8652FF52 00FFFFFF
	s_mul_i32 s82, s82, s71                                    // 000000006CB8: 92524752
	s_mul_i32 s61, s60, s61                                    // 000000006CBC: 923D3D3C
	s_add_u32 s82, s82, s61                                    // 000000006CC0: 80523D52
	v_mul_lo_u32 v7, v4, s82                                   // 000000006CC4: D2850007 0000A504
	v_add_u32_e32 v73, v6, v7                                  // 000000006CCC: 68920F06
	v_readlane_b32 s82, v3, 8                                  // 000000006CD0: D2890052 00011103
	s_lshr_b32 s61, s82, 24                                    // 000000006CD8: 8F3D9852
	s_and_b32 s82, s82, 0xffffff                               // 000000006CDC: 8652FF52 00FFFFFF
	s_mul_i32 s82, s82, s71                                    // 000000006CE4: 92524752
	s_mul_i32 s61, s60, s61                                    // 000000006CE8: 923D3D3C
	s_add_u32 s82, s82, s61                                    // 000000006CEC: 80523D52
	v_mul_lo_u32 v6, v5, s82                                   // 000000006CF0: D2850006 0000A505
	v_readlane_b32 s82, v3, 9                                  // 000000006CF8: D2890052 00011303
	s_lshr_b32 s61, s82, 24                                    // 000000006D00: 8F3D9852
	s_and_b32 s82, s82, 0xffffff                               // 000000006D04: 8652FF52 00FFFFFF
	s_mul_i32 s82, s82, s71                                    // 000000006D0C: 92524752
	s_mul_i32 s61, s60, s61                                    // 000000006D10: 923D3D3C
	s_add_u32 s82, s82, s61                                    // 000000006D14: 80523D52
	v_mul_lo_u32 v7, v4, s82                                   // 000000006D18: D2850007 0000A504
	v_add_u32_e32 v74, v6, v7                                  // 000000006D20: 68940F06
	v_readlane_b32 s82, v3, 10                                 // 000000006D24: D2890052 00011503
	s_lshr_b32 s61, s82, 24                                    // 000000006D2C: 8F3D9852
	s_and_b32 s82, s82, 0xffffff                               // 000000006D30: 8652FF52 00FFFFFF
	s_mul_i32 s82, s82, s71                                    // 000000006D38: 92524752
	s_mul_i32 s61, s60, s61                                    // 000000006D3C: 923D3D3C
	s_add_u32 s82, s82, s61                                    // 000000006D40: 80523D52
	v_mul_lo_u32 v6, v5, s82                                   // 000000006D44: D2850006 0000A505
	v_readlane_b32 s82, v3, 11                                 // 000000006D4C: D2890052 00011703
	s_lshr_b32 s61, s82, 24                                    // 000000006D54: 8F3D9852
	s_and_b32 s82, s82, 0xffffff                               // 000000006D58: 8652FF52 00FFFFFF
	s_mul_i32 s82, s82, s71                                    // 000000006D60: 92524752
	s_mul_i32 s61, s60, s61                                    // 000000006D64: 923D3D3C
	s_add_u32 s82, s82, s61                                    // 000000006D68: 80523D52
	v_mul_lo_u32 v7, v4, s82                                   // 000000006D6C: D2850007 0000A504
	v_add_u32_e32 v75, v6, v7                                  // 000000006D74: 68960F06
	v_readlane_b32 s82, v3, 12                                 // 000000006D78: D2890052 00011903
	s_lshr_b32 s61, s82, 24                                    // 000000006D80: 8F3D9852
	s_and_b32 s82, s82, 0xffffff                               // 000000006D84: 8652FF52 00FFFFFF
	s_mul_i32 s82, s82, s71                                    // 000000006D8C: 92524752
	s_mul_i32 s61, s60, s61                                    // 000000006D90: 923D3D3C
	s_add_u32 s82, s82, s61                                    // 000000006D94: 80523D52
	v_mul_lo_u32 v6, v5, s82                                   // 000000006D98: D2850006 0000A505
	v_readlane_b32 s82, v3, 13                                 // 000000006DA0: D2890052 00011B03
	s_lshr_b32 s61, s82, 24                                    // 000000006DA8: 8F3D9852
	s_and_b32 s82, s82, 0xffffff                               // 000000006DAC: 8652FF52 00FFFFFF
	s_mul_i32 s82, s82, s71                                    // 000000006DB4: 92524752
	s_mul_i32 s61, s60, s61                                    // 000000006DB8: 923D3D3C
	s_add_u32 s82, s82, s61                                    // 000000006DBC: 80523D52
	v_mul_lo_u32 v7, v4, s82                                   // 000000006DC0: D2850007 0000A504
	v_add_u32_e32 v76, v6, v7                                  // 000000006DC8: 68980F06
	v_readlane_b32 s82, v3, 14                                 // 000000006DCC: D2890052 00011D03
	s_lshr_b32 s61, s82, 24                                    // 000000006DD4: 8F3D9852
	s_and_b32 s82, s82, 0xffffff                               // 000000006DD8: 8652FF52 00FFFFFF
	s_mul_i32 s82, s82, s71                                    // 000000006DE0: 92524752
	s_mul_i32 s61, s60, s61                                    // 000000006DE4: 923D3D3C
	s_add_u32 s82, s82, s61                                    // 000000006DE8: 80523D52
	v_mul_lo_u32 v6, v5, s82                                   // 000000006DEC: D2850006 0000A505
	v_readlane_b32 s82, v3, 15                                 // 000000006DF4: D2890052 00011F03
	s_lshr_b32 s61, s82, 24                                    // 000000006DFC: 8F3D9852
	s_and_b32 s82, s82, 0xffffff                               // 000000006E00: 8652FF52 00FFFFFF
	s_mul_i32 s82, s82, s71                                    // 000000006E08: 92524752
	s_mul_i32 s61, s60, s61                                    // 000000006E0C: 923D3D3C
	s_add_u32 s82, s82, s61                                    // 000000006E10: 80523D52
	v_mul_lo_u32 v7, v4, s82                                   // 000000006E14: D2850007 0000A504
	v_add_u32_e32 v77, v6, v7                                  // 000000006E1C: 689A0F06
	v_readlane_b32 s82, v3, 16                                 // 000000006E20: D2890052 00012103
	s_lshr_b32 s61, s82, 24                                    // 000000006E28: 8F3D9852
	s_and_b32 s82, s82, 0xffffff                               // 000000006E2C: 8652FF52 00FFFFFF
	s_mul_i32 s82, s82, s71                                    // 000000006E34: 92524752
	s_mul_i32 s61, s60, s61                                    // 000000006E38: 923D3D3C
	s_add_u32 s82, s82, s61                                    // 000000006E3C: 80523D52
	v_mul_lo_u32 v6, v5, s82                                   // 000000006E40: D2850006 0000A505
	v_readlane_b32 s82, v3, 17                                 // 000000006E48: D2890052 00012303
	s_lshr_b32 s61, s82, 24                                    // 000000006E50: 8F3D9852
	s_and_b32 s82, s82, 0xffffff                               // 000000006E54: 8652FF52 00FFFFFF
	s_mul_i32 s82, s82, s71                                    // 000000006E5C: 92524752
	s_mul_i32 s61, s60, s61                                    // 000000006E60: 923D3D3C
	s_add_u32 s82, s82, s61                                    // 000000006E64: 80523D52
	v_mul_lo_u32 v7, v4, s82                                   // 000000006E68: D2850007 0000A504
	v_add_u32_e32 v78, v6, v7                                  // 000000006E70: 689C0F06
	v_readlane_b32 s82, v3, 18                                 // 000000006E74: D2890052 00012503
	s_lshr_b32 s61, s82, 24                                    // 000000006E7C: 8F3D9852
	s_and_b32 s82, s82, 0xffffff                               // 000000006E80: 8652FF52 00FFFFFF
	s_mul_i32 s82, s82, s71                                    // 000000006E88: 92524752
	s_mul_i32 s61, s60, s61                                    // 000000006E8C: 923D3D3C
	s_add_u32 s82, s82, s61                                    // 000000006E90: 80523D52
	v_mul_lo_u32 v6, v5, s82                                   // 000000006E94: D2850006 0000A505
	v_readlane_b32 s82, v3, 19                                 // 000000006E9C: D2890052 00012703
	s_lshr_b32 s61, s82, 24                                    // 000000006EA4: 8F3D9852
	s_and_b32 s82, s82, 0xffffff                               // 000000006EA8: 8652FF52 00FFFFFF
	s_mul_i32 s82, s82, s71                                    // 000000006EB0: 92524752
	s_mul_i32 s61, s60, s61                                    // 000000006EB4: 923D3D3C
	s_add_u32 s82, s82, s61                                    // 000000006EB8: 80523D52
	v_mul_lo_u32 v7, v4, s82                                   // 000000006EBC: D2850007 0000A504
	v_add_u32_e32 v79, v6, v7                                  // 000000006EC4: 689E0F06
	v_readlane_b32 s82, v3, 20                                 // 000000006EC8: D2890052 00012903
	s_lshr_b32 s61, s82, 24                                    // 000000006ED0: 8F3D9852
	s_and_b32 s82, s82, 0xffffff                               // 000000006ED4: 8652FF52 00FFFFFF
	s_mul_i32 s82, s82, s71                                    // 000000006EDC: 92524752
	s_mul_i32 s61, s60, s61                                    // 000000006EE0: 923D3D3C
	s_add_u32 s82, s82, s61                                    // 000000006EE4: 80523D52
	v_mul_lo_u32 v6, v5, s82                                   // 000000006EE8: D2850006 0000A505
	v_readlane_b32 s82, v3, 21                                 // 000000006EF0: D2890052 00012B03
	s_lshr_b32 s61, s82, 24                                    // 000000006EF8: 8F3D9852
	s_and_b32 s82, s82, 0xffffff                               // 000000006EFC: 8652FF52 00FFFFFF
	s_mul_i32 s82, s82, s71                                    // 000000006F04: 92524752
	s_mul_i32 s61, s60, s61                                    // 000000006F08: 923D3D3C
	s_add_u32 s82, s82, s61                                    // 000000006F0C: 80523D52
	v_mul_lo_u32 v7, v4, s82                                   // 000000006F10: D2850007 0000A504
	v_add_u32_e32 v80, v6, v7                                  // 000000006F18: 68A00F06
	v_readlane_b32 s82, v3, 22                                 // 000000006F1C: D2890052 00012D03
	s_lshr_b32 s61, s82, 24                                    // 000000006F24: 8F3D9852
	s_and_b32 s82, s82, 0xffffff                               // 000000006F28: 8652FF52 00FFFFFF
	s_mul_i32 s82, s82, s71                                    // 000000006F30: 92524752
	s_mul_i32 s61, s60, s61                                    // 000000006F34: 923D3D3C
	s_add_u32 s82, s82, s61                                    // 000000006F38: 80523D52
	v_mul_lo_u32 v6, v5, s82                                   // 000000006F3C: D2850006 0000A505
	v_readlane_b32 s82, v3, 23                                 // 000000006F44: D2890052 00012F03
	s_lshr_b32 s61, s82, 24                                    // 000000006F4C: 8F3D9852
	s_and_b32 s82, s82, 0xffffff                               // 000000006F50: 8652FF52 00FFFFFF
	s_mul_i32 s82, s82, s71                                    // 000000006F58: 92524752
	s_mul_i32 s61, s60, s61                                    // 000000006F5C: 923D3D3C
	s_add_u32 s82, s82, s61                                    // 000000006F60: 80523D52
	v_mul_lo_u32 v7, v4, s82                                   // 000000006F64: D2850007 0000A504
	v_add_u32_e32 v81, v6, v7                                  // 000000006F6C: 68A20F06
	v_readlane_b32 s82, v3, 24                                 // 000000006F70: D2890052 00013103
	s_lshr_b32 s61, s82, 24                                    // 000000006F78: 8F3D9852
	s_and_b32 s82, s82, 0xffffff                               // 000000006F7C: 8652FF52 00FFFFFF
	s_mul_i32 s82, s82, s71                                    // 000000006F84: 92524752
	s_mul_i32 s61, s60, s61                                    // 000000006F88: 923D3D3C
	s_add_u32 s82, s82, s61                                    // 000000006F8C: 80523D52
	v_mul_lo_u32 v6, v5, s82                                   // 000000006F90: D2850006 0000A505
	v_readlane_b32 s82, v3, 25                                 // 000000006F98: D2890052 00013303
	s_lshr_b32 s61, s82, 24                                    // 000000006FA0: 8F3D9852
	s_and_b32 s82, s82, 0xffffff                               // 000000006FA4: 8652FF52 00FFFFFF
	s_mul_i32 s82, s82, s71                                    // 000000006FAC: 92524752
	s_mul_i32 s61, s60, s61                                    // 000000006FB0: 923D3D3C
	s_add_u32 s82, s82, s61                                    // 000000006FB4: 80523D52
	v_mul_lo_u32 v7, v4, s82                                   // 000000006FB8: D2850007 0000A504
	v_add_u32_e32 v82, v6, v7                                  // 000000006FC0: 68A40F06
	v_readlane_b32 s82, v3, 26                                 // 000000006FC4: D2890052 00013503
	s_lshr_b32 s61, s82, 24                                    // 000000006FCC: 8F3D9852
	s_and_b32 s82, s82, 0xffffff                               // 000000006FD0: 8652FF52 00FFFFFF
	s_mul_i32 s82, s82, s71                                    // 000000006FD8: 92524752
	s_mul_i32 s61, s60, s61                                    // 000000006FDC: 923D3D3C
	s_add_u32 s82, s82, s61                                    // 000000006FE0: 80523D52
	v_mul_lo_u32 v6, v5, s82                                   // 000000006FE4: D2850006 0000A505
	v_readlane_b32 s82, v3, 27                                 // 000000006FEC: D2890052 00013703
	s_lshr_b32 s61, s82, 24                                    // 000000006FF4: 8F3D9852
	s_and_b32 s82, s82, 0xffffff                               // 000000006FF8: 8652FF52 00FFFFFF
	s_mul_i32 s82, s82, s71                                    // 000000007000: 92524752
	s_mul_i32 s61, s60, s61                                    // 000000007004: 923D3D3C
	s_add_u32 s82, s82, s61                                    // 000000007008: 80523D52
	v_mul_lo_u32 v7, v4, s82                                   // 00000000700C: D2850007 0000A504
	v_add_u32_e32 v83, v6, v7                                  // 000000007014: 68A60F06
	v_readlane_b32 s82, v3, 28                                 // 000000007018: D2890052 00013903
	s_lshr_b32 s61, s82, 24                                    // 000000007020: 8F3D9852
	s_and_b32 s82, s82, 0xffffff                               // 000000007024: 8652FF52 00FFFFFF
	s_mul_i32 s82, s82, s71                                    // 00000000702C: 92524752
	s_mul_i32 s61, s60, s61                                    // 000000007030: 923D3D3C
	s_add_u32 s82, s82, s61                                    // 000000007034: 80523D52
	v_mul_lo_u32 v6, v5, s82                                   // 000000007038: D2850006 0000A505
	v_readlane_b32 s82, v3, 29                                 // 000000007040: D2890052 00013B03
	s_lshr_b32 s61, s82, 24                                    // 000000007048: 8F3D9852
	s_and_b32 s82, s82, 0xffffff                               // 00000000704C: 8652FF52 00FFFFFF
	s_mul_i32 s82, s82, s71                                    // 000000007054: 92524752
	s_mul_i32 s61, s60, s61                                    // 000000007058: 923D3D3C
	s_add_u32 s82, s82, s61                                    // 00000000705C: 80523D52
	v_mul_lo_u32 v7, v4, s82                                   // 000000007060: D2850007 0000A504
	v_add_u32_e32 v84, v6, v7                                  // 000000007068: 68A80F06
	v_readlane_b32 s82, v3, 30                                 // 00000000706C: D2890052 00013D03
	s_lshr_b32 s61, s82, 24                                    // 000000007074: 8F3D9852
	s_and_b32 s82, s82, 0xffffff                               // 000000007078: 8652FF52 00FFFFFF
	s_mul_i32 s82, s82, s71                                    // 000000007080: 92524752
	s_mul_i32 s61, s60, s61                                    // 000000007084: 923D3D3C
	s_add_u32 s82, s82, s61                                    // 000000007088: 80523D52
	v_mul_lo_u32 v6, v5, s82                                   // 00000000708C: D2850006 0000A505
	v_readlane_b32 s82, v3, 31                                 // 000000007094: D2890052 00013F03
	s_lshr_b32 s61, s82, 24                                    // 00000000709C: 8F3D9852
	s_and_b32 s82, s82, 0xffffff                               // 0000000070A0: 8652FF52 00FFFFFF
	s_mul_i32 s82, s82, s71                                    // 0000000070A8: 92524752
	s_mul_i32 s61, s60, s61                                    // 0000000070AC: 923D3D3C
	s_add_u32 s82, s82, s61                                    // 0000000070B0: 80523D52
	v_mul_lo_u32 v7, v4, s82                                   // 0000000070B4: D2850007 0000A504
	v_add_u32_e32 v85, v6, v7                                  // 0000000070BC: 68AA0F06
	v_readlane_b32 s82, v3, 32                                 // 0000000070C0: D2890052 00014103
	s_lshr_b32 s61, s82, 24                                    // 0000000070C8: 8F3D9852
	s_and_b32 s82, s82, 0xffffff                               // 0000000070CC: 8652FF52 00FFFFFF
	s_mul_i32 s82, s82, s71                                    // 0000000070D4: 92524752
	s_mul_i32 s61, s60, s61                                    // 0000000070D8: 923D3D3C
	s_add_u32 s82, s82, s61                                    // 0000000070DC: 80523D52
	v_mul_lo_u32 v6, v5, s82                                   // 0000000070E0: D2850006 0000A505
	v_readlane_b32 s82, v3, 33                                 // 0000000070E8: D2890052 00014303
	s_lshr_b32 s61, s82, 24                                    // 0000000070F0: 8F3D9852
	s_and_b32 s82, s82, 0xffffff                               // 0000000070F4: 8652FF52 00FFFFFF
	s_mul_i32 s82, s82, s71                                    // 0000000070FC: 92524752
	s_mul_i32 s61, s60, s61                                    // 000000007100: 923D3D3C
	s_add_u32 s82, s82, s61                                    // 000000007104: 80523D52
	v_mul_lo_u32 v7, v4, s82                                   // 000000007108: D2850007 0000A504
	v_add_u32_e32 v86, v6, v7                                  // 000000007110: 68AC0F06
	v_readlane_b32 s82, v3, 34                                 // 000000007114: D2890052 00014503
	s_lshr_b32 s61, s82, 24                                    // 00000000711C: 8F3D9852
	s_and_b32 s82, s82, 0xffffff                               // 000000007120: 8652FF52 00FFFFFF
	s_mul_i32 s82, s82, s71                                    // 000000007128: 92524752
	s_mul_i32 s61, s60, s61                                    // 00000000712C: 923D3D3C
	s_add_u32 s82, s82, s61                                    // 000000007130: 80523D52
	v_mul_lo_u32 v6, v5, s82                                   // 000000007134: D2850006 0000A505
	v_readlane_b32 s82, v3, 35                                 // 00000000713C: D2890052 00014703
	s_lshr_b32 s61, s82, 24                                    // 000000007144: 8F3D9852
	s_and_b32 s82, s82, 0xffffff                               // 000000007148: 8652FF52 00FFFFFF
	s_mul_i32 s82, s82, s71                                    // 000000007150: 92524752
	s_mul_i32 s61, s60, s61                                    // 000000007154: 923D3D3C
	s_add_u32 s82, s82, s61                                    // 000000007158: 80523D52
	v_mul_lo_u32 v7, v4, s82                                   // 00000000715C: D2850007 0000A504
	v_add_u32_e32 v87, v6, v7                                  // 000000007164: 68AE0F06
	v_readlane_b32 s82, v3, 36                                 // 000000007168: D2890052 00014903
	s_lshr_b32 s61, s82, 24                                    // 000000007170: 8F3D9852
	s_and_b32 s82, s82, 0xffffff                               // 000000007174: 8652FF52 00FFFFFF
	s_mul_i32 s82, s82, s71                                    // 00000000717C: 92524752
	s_mul_i32 s61, s60, s61                                    // 000000007180: 923D3D3C
	s_add_u32 s82, s82, s61                                    // 000000007184: 80523D52
	v_mul_lo_u32 v6, v5, s82                                   // 000000007188: D2850006 0000A505
	v_readlane_b32 s82, v3, 37                                 // 000000007190: D2890052 00014B03
	s_lshr_b32 s61, s82, 24                                    // 000000007198: 8F3D9852
	s_and_b32 s82, s82, 0xffffff                               // 00000000719C: 8652FF52 00FFFFFF
	s_mul_i32 s82, s82, s71                                    // 0000000071A4: 92524752
	s_mul_i32 s61, s60, s61                                    // 0000000071A8: 923D3D3C
	s_add_u32 s82, s82, s61                                    // 0000000071AC: 80523D52
	v_mul_lo_u32 v7, v4, s82                                   // 0000000071B0: D2850007 0000A504
	v_add_u32_e32 v88, v6, v7                                  // 0000000071B8: 68B00F06
	v_readlane_b32 s82, v3, 38                                 // 0000000071BC: D2890052 00014D03
	s_lshr_b32 s61, s82, 24                                    // 0000000071C4: 8F3D9852
	s_and_b32 s82, s82, 0xffffff                               // 0000000071C8: 8652FF52 00FFFFFF
	s_mul_i32 s82, s82, s71                                    // 0000000071D0: 92524752
	s_mul_i32 s61, s60, s61                                    // 0000000071D4: 923D3D3C
	s_add_u32 s82, s82, s61                                    // 0000000071D8: 80523D52
	v_mul_lo_u32 v6, v5, s82                                   // 0000000071DC: D2850006 0000A505
	v_readlane_b32 s82, v3, 39                                 // 0000000071E4: D2890052 00014F03
	s_lshr_b32 s61, s82, 24                                    // 0000000071EC: 8F3D9852
	s_and_b32 s82, s82, 0xffffff                               // 0000000071F0: 8652FF52 00FFFFFF
	s_mul_i32 s82, s82, s71                                    // 0000000071F8: 92524752
	s_mul_i32 s61, s60, s61                                    // 0000000071FC: 923D3D3C
	s_add_u32 s82, s82, s61                                    // 000000007200: 80523D52
	v_mul_lo_u32 v7, v4, s82                                   // 000000007204: D2850007 0000A504
	v_add_u32_e32 v89, v6, v7                                  // 00000000720C: 68B20F06
	v_and_b32_e32 v4, 31, v0                                   // 000000007210: 2608009F
	v_lshrrev_b32_e32 v4, 1, v4                                // 000000007214: 20080881
	s_cmp_eq_u32 s88, 0                                        // 000000007218: BF068058
	s_cselect_b32 s61, 2, 4                                    // 00000000721C: 853D8482
	v_mul_lo_u32 v4, v4, s61                                   // 000000007220: D2850004 00007B04
	v_and_b32_e64 v5, v0, 1                                    // 000000007228: D1130005 00010300
	v_add_u32_e32 v4, v4, v5                                   // 000000007230: 68080B04
	v_lshlrev_b32_e32 v4, 2, v4                                // 000000007234: 24080882
	v_add_u32_e32 v70, v70, v4                                 // 000000007238: 688C0946
	v_add_u32_e32 v71, v71, v4                                 // 00000000723C: 688E0947
	v_add_u32_e32 v72, v72, v4                                 // 000000007240: 68900948
	v_add_u32_e32 v73, v73, v4                                 // 000000007244: 68920949
	v_add_u32_e32 v74, v74, v4                                 // 000000007248: 6894094A
	v_add_u32_e32 v75, v75, v4                                 // 00000000724C: 6896094B
	v_add_u32_e32 v76, v76, v4                                 // 000000007250: 6898094C
	v_add_u32_e32 v77, v77, v4                                 // 000000007254: 689A094D
	v_add_u32_e32 v78, v78, v4                                 // 000000007258: 689C094E
	v_add_u32_e32 v79, v79, v4                                 // 00000000725C: 689E094F
	v_add_u32_e32 v80, v80, v4                                 // 000000007260: 68A00950
	v_add_u32_e32 v81, v81, v4                                 // 000000007264: 68A20951
	v_add_u32_e32 v82, v82, v4                                 // 000000007268: 68A40952
	v_add_u32_e32 v83, v83, v4                                 // 00000000726C: 68A60953
	v_add_u32_e32 v84, v84, v4                                 // 000000007270: 68A80954
	v_add_u32_e32 v85, v85, v4                                 // 000000007274: 68AA0955
	v_add_u32_e32 v86, v86, v4                                 // 000000007278: 68AC0956
	v_add_u32_e32 v87, v87, v4                                 // 00000000727C: 68AE0957
	v_add_u32_e32 v88, v88, v4                                 // 000000007280: 68B00958
	v_add_u32_e32 v89, v89, v4                                 // 000000007284: 68B20959
	s_waitcnt lgkmcnt(0)                                       // 000000007288: BF8CC07F
	s_barrier                                                  // 00000000728C: BF8A0000
	ds_read_b32 v92, v21                                       // 000000007290: D86C0000 5C000015
	ds_read_b32 v93, v21 offset:64                             // 000000007298: D86C0040 5D000015
	ds_read_b32 v94, v21 offset:2176                           // 0000000072A0: D86C0880 5E000015
	ds_read_b32 v95, v21 offset:2240                           // 0000000072A8: D86C08C0 5F000015
	ds_read_b32 v96, v21 offset:4352                           // 0000000072B0: D86C1100 60000015
	ds_read_b32 v97, v21 offset:4416                           // 0000000072B8: D86C1140 61000015
	ds_read_b32 v98, v21 offset:6528                           // 0000000072C0: D86C1980 62000015
	ds_read_b32 v99, v21 offset:6592                           // 0000000072C8: D86C19C0 63000015
	ds_read_b32 v100, v21 offset:8704                          // 0000000072D0: D86C2200 64000015
	ds_read_b32 v101, v21 offset:8768                          // 0000000072D8: D86C2240 65000015
	ds_read_b32 v102, v21 offset:10880                         // 0000000072E0: D86C2A80 66000015
	ds_read_b32 v103, v21 offset:10944                         // 0000000072E8: D86C2AC0 67000015
	ds_read_b32 v104, v21 offset:13056                         // 0000000072F0: D86C3300 68000015
	ds_read_b32 v105, v21 offset:13120                         // 0000000072F8: D86C3340 69000015
	ds_read_b32 v106, v21 offset:15232                         // 000000007300: D86C3B80 6A000015
	ds_read_b32 v107, v21 offset:15296                         // 000000007308: D86C3BC0 6B000015
	ds_read_b32 v108, v21 offset:17408                         // 000000007310: D86C4400 6C000015
	ds_read_b32 v109, v21 offset:17472                         // 000000007318: D86C4440 6D000015
	ds_read_b32 v110, v21 offset:19584                         // 000000007320: D86C4C80 6E000015
	ds_read_b32 v111, v21 offset:19648                         // 000000007328: D86C4CC0 6F000015
	s_waitcnt lgkmcnt(0)                                       // 000000007330: BF8CC07F
	s_mov_b32 s36, -1                                          // 000000007334: BEA400C1
	s_mov_b32 s37, -1                                          // 000000007338: BEA500C1
	v_mov_b32_e32 v7, 0                                        // 00000000733C: 7E0E0280
	s_or_b32 s9, s9, 0x40000                                   // 000000007340: 8709FF09 00040000
	s_mov_b64 exec, s[36:37]                                   // 000000007348: BEFE0124
	v_mov_b32_e32 v6, v70                                      // 00000000734C: 7E0C0346
	s_mov_b64 s[60:61], 0                                      // 000000007350: BEBC0180
	v_readlane_b32 s82, v3, 0                                  // 000000007354: D2890052 00010103
	s_and_b32 s82, s82, 0xffffff                               // 00000000735C: 8652FF52 00FFFFFF
	s_cmp_lt_u32 s82, s66                                      // 000000007364: BF0A4252
	s_cselect_b32 s20, s36, s60                                // 000000007368: 85143C24
	v_readlane_b32 s82, v3, 1                                  // 00000000736C: D2890052 00010303
	s_and_b32 s82, s82, 0xffffff                               // 000000007374: 8652FF52 00FFFFFF
	s_cmp_lt_u32 s82, s66                                      // 00000000737C: BF0A4252
	s_cselect_b32 s21, s36, s60                                // 000000007380: 85153C24
	s_mov_b64 exec, s[20:21]                                   // 000000007384: BEFE0114
	buffer_store_dword v92, v6, s[8:11], 0 offen               // 000000007388: E0701000 80025C06
	s_mov_b64 exec, s[36:37]                                   // 000000007390: BEFE0124
	v_mov_b32_e32 v6, v71                                      // 000000007394: 7E0C0347
	s_mov_b64 s[60:61], 0                                      // 000000007398: BEBC0180
	v_readlane_b32 s82, v3, 2                                  // 00000000739C: D2890052 00010503
	s_and_b32 s82, s82, 0xffffff                               // 0000000073A4: 8652FF52 00FFFFFF
	s_cmp_lt_u32 s82, s66                                      // 0000000073AC: BF0A4252
	s_cselect_b32 s20, s36, s60                                // 0000000073B0: 85143C24
	v_readlane_b32 s82, v3, 3                                  // 0000000073B4: D2890052 00010703
	s_and_b32 s82, s82, 0xffffff                               // 0000000073BC: 8652FF52 00FFFFFF
	s_cmp_lt_u32 s82, s66                                      // 0000000073C4: BF0A4252
	s_cselect_b32 s21, s36, s60                                // 0000000073C8: 85153C24
	s_mov_b64 exec, s[20:21]                                   // 0000000073CC: BEFE0114
	buffer_store_dword v93, v6, s[8:11], 0 offen               // 0000000073D0: E0701000 80025D06
	s_mov_b64 exec, s[36:37]                                   // 0000000073D8: BEFE0124
	v_mov_b32_e32 v6, v72                                      // 0000000073DC: 7E0C0348
	s_mov_b64 s[60:61], 0                                      // 0000000073E0: BEBC0180
	v_readlane_b32 s82, v3, 4                                  // 0000000073E4: D2890052 00010903
	s_and_b32 s82, s82, 0xffffff                               // 0000000073EC: 8652FF52 00FFFFFF
	s_cmp_lt_u32 s82, s66                                      // 0000000073F4: BF0A4252
	s_cselect_b32 s20, s36, s60                                // 0000000073F8: 85143C24
	v_readlane_b32 s82, v3, 5                                  // 0000000073FC: D2890052 00010B03
	s_and_b32 s82, s82, 0xffffff                               // 000000007404: 8652FF52 00FFFFFF
	s_cmp_lt_u32 s82, s66                                      // 00000000740C: BF0A4252
	s_cselect_b32 s21, s36, s60                                // 000000007410: 85153C24
	s_mov_b64 exec, s[20:21]                                   // 000000007414: BEFE0114
	buffer_store_dword v94, v6, s[8:11], 0 offen               // 000000007418: E0701000 80025E06
	s_mov_b64 exec, s[36:37]                                   // 000000007420: BEFE0124
	v_mov_b32_e32 v6, v73                                      // 000000007424: 7E0C0349
	s_mov_b64 s[60:61], 0                                      // 000000007428: BEBC0180
	v_readlane_b32 s82, v3, 6                                  // 00000000742C: D2890052 00010D03
	s_and_b32 s82, s82, 0xffffff                               // 000000007434: 8652FF52 00FFFFFF
	s_cmp_lt_u32 s82, s66                                      // 00000000743C: BF0A4252
	s_cselect_b32 s20, s36, s60                                // 000000007440: 85143C24
	v_readlane_b32 s82, v3, 7                                  // 000000007444: D2890052 00010F03
	s_and_b32 s82, s82, 0xffffff                               // 00000000744C: 8652FF52 00FFFFFF
	s_cmp_lt_u32 s82, s66                                      // 000000007454: BF0A4252
	s_cselect_b32 s21, s36, s60                                // 000000007458: 85153C24
	s_mov_b64 exec, s[20:21]                                   // 00000000745C: BEFE0114
	buffer_store_dword v95, v6, s[8:11], 0 offen               // 000000007460: E0701000 80025F06
	s_mov_b64 exec, s[36:37]                                   // 000000007468: BEFE0124
	v_mov_b32_e32 v6, v74                                      // 00000000746C: 7E0C034A
	s_mov_b64 s[60:61], 0                                      // 000000007470: BEBC0180
	v_readlane_b32 s82, v3, 8                                  // 000000007474: D2890052 00011103
	s_and_b32 s82, s82, 0xffffff                               // 00000000747C: 8652FF52 00FFFFFF
	s_cmp_lt_u32 s82, s66                                      // 000000007484: BF0A4252
	s_cselect_b32 s20, s36, s60                                // 000000007488: 85143C24
	v_readlane_b32 s82, v3, 9                                  // 00000000748C: D2890052 00011303
	s_and_b32 s82, s82, 0xffffff                               // 000000007494: 8652FF52 00FFFFFF
	s_cmp_lt_u32 s82, s66                                      // 00000000749C: BF0A4252
	s_cselect_b32 s21, s36, s60                                // 0000000074A0: 85153C24
	s_mov_b64 exec, s[20:21]                                   // 0000000074A4: BEFE0114
	buffer_store_dword v96, v6, s[8:11], 0 offen               // 0000000074A8: E0701000 80026006
	s_mov_b64 exec, s[36:37]                                   // 0000000074B0: BEFE0124
	v_mov_b32_e32 v6, v75                                      // 0000000074B4: 7E0C034B
	s_mov_b64 s[60:61], 0                                      // 0000000074B8: BEBC0180
	v_readlane_b32 s82, v3, 10                                 // 0000000074BC: D2890052 00011503
	s_and_b32 s82, s82, 0xffffff                               // 0000000074C4: 8652FF52 00FFFFFF
	s_cmp_lt_u32 s82, s66                                      // 0000000074CC: BF0A4252
	s_cselect_b32 s20, s36, s60                                // 0000000074D0: 85143C24
	v_readlane_b32 s82, v3, 11                                 // 0000000074D4: D2890052 00011703
	s_and_b32 s82, s82, 0xffffff                               // 0000000074DC: 8652FF52 00FFFFFF
	s_cmp_lt_u32 s82, s66                                      // 0000000074E4: BF0A4252
	s_cselect_b32 s21, s36, s60                                // 0000000074E8: 85153C24
	s_mov_b64 exec, s[20:21]                                   // 0000000074EC: BEFE0114
	buffer_store_dword v97, v6, s[8:11], 0 offen               // 0000000074F0: E0701000 80026106
	s_mov_b64 exec, s[36:37]                                   // 0000000074F8: BEFE0124
	v_mov_b32_e32 v6, v76                                      // 0000000074FC: 7E0C034C
	s_mov_b64 s[60:61], 0                                      // 000000007500: BEBC0180
	v_readlane_b32 s82, v3, 12                                 // 000000007504: D2890052 00011903
	s_and_b32 s82, s82, 0xffffff                               // 00000000750C: 8652FF52 00FFFFFF
	s_cmp_lt_u32 s82, s66                                      // 000000007514: BF0A4252
	s_cselect_b32 s20, s36, s60                                // 000000007518: 85143C24
	v_readlane_b32 s82, v3, 13                                 // 00000000751C: D2890052 00011B03
	s_and_b32 s82, s82, 0xffffff                               // 000000007524: 8652FF52 00FFFFFF
	s_cmp_lt_u32 s82, s66                                      // 00000000752C: BF0A4252
	s_cselect_b32 s21, s36, s60                                // 000000007530: 85153C24
	s_mov_b64 exec, s[20:21]                                   // 000000007534: BEFE0114
	buffer_store_dword v98, v6, s[8:11], 0 offen               // 000000007538: E0701000 80026206
	s_mov_b64 exec, s[36:37]                                   // 000000007540: BEFE0124
	v_mov_b32_e32 v6, v77                                      // 000000007544: 7E0C034D
	s_mov_b64 s[60:61], 0                                      // 000000007548: BEBC0180
	v_readlane_b32 s82, v3, 14                                 // 00000000754C: D2890052 00011D03
	s_and_b32 s82, s82, 0xffffff                               // 000000007554: 8652FF52 00FFFFFF
	s_cmp_lt_u32 s82, s66                                      // 00000000755C: BF0A4252
	s_cselect_b32 s20, s36, s60                                // 000000007560: 85143C24
	v_readlane_b32 s82, v3, 15                                 // 000000007564: D2890052 00011F03
	s_and_b32 s82, s82, 0xffffff                               // 00000000756C: 8652FF52 00FFFFFF
	s_cmp_lt_u32 s82, s66                                      // 000000007574: BF0A4252
	s_cselect_b32 s21, s36, s60                                // 000000007578: 85153C24
	s_mov_b64 exec, s[20:21]                                   // 00000000757C: BEFE0114
	buffer_store_dword v99, v6, s[8:11], 0 offen               // 000000007580: E0701000 80026306
	s_mov_b64 exec, s[36:37]                                   // 000000007588: BEFE0124
	v_mov_b32_e32 v6, v78                                      // 00000000758C: 7E0C034E
	s_mov_b64 s[60:61], 0                                      // 000000007590: BEBC0180
	v_readlane_b32 s82, v3, 16                                 // 000000007594: D2890052 00012103
	s_and_b32 s82, s82, 0xffffff                               // 00000000759C: 8652FF52 00FFFFFF
	s_cmp_lt_u32 s82, s66                                      // 0000000075A4: BF0A4252
	s_cselect_b32 s20, s36, s60                                // 0000000075A8: 85143C24
	v_readlane_b32 s82, v3, 17                                 // 0000000075AC: D2890052 00012303
	s_and_b32 s82, s82, 0xffffff                               // 0000000075B4: 8652FF52 00FFFFFF
	s_cmp_lt_u32 s82, s66                                      // 0000000075BC: BF0A4252
	s_cselect_b32 s21, s36, s60                                // 0000000075C0: 85153C24
	s_mov_b64 exec, s[20:21]                                   // 0000000075C4: BEFE0114
	buffer_store_dword v100, v6, s[8:11], 0 offen              // 0000000075C8: E0701000 80026406
	s_mov_b64 exec, s[36:37]                                   // 0000000075D0: BEFE0124
	v_mov_b32_e32 v6, v79                                      // 0000000075D4: 7E0C034F
	s_mov_b64 s[60:61], 0                                      // 0000000075D8: BEBC0180
	v_readlane_b32 s82, v3, 18                                 // 0000000075DC: D2890052 00012503
	s_and_b32 s82, s82, 0xffffff                               // 0000000075E4: 8652FF52 00FFFFFF
	s_cmp_lt_u32 s82, s66                                      // 0000000075EC: BF0A4252
	s_cselect_b32 s20, s36, s60                                // 0000000075F0: 85143C24
	v_readlane_b32 s82, v3, 19                                 // 0000000075F4: D2890052 00012703
	s_and_b32 s82, s82, 0xffffff                               // 0000000075FC: 8652FF52 00FFFFFF
	s_cmp_lt_u32 s82, s66                                      // 000000007604: BF0A4252
	s_cselect_b32 s21, s36, s60                                // 000000007608: 85153C24
	s_mov_b64 exec, s[20:21]                                   // 00000000760C: BEFE0114
	buffer_store_dword v101, v6, s[8:11], 0 offen              // 000000007610: E0701000 80026506
	s_mov_b64 exec, s[36:37]                                   // 000000007618: BEFE0124
	v_mov_b32_e32 v6, v80                                      // 00000000761C: 7E0C0350
	s_mov_b64 s[60:61], 0                                      // 000000007620: BEBC0180
	v_readlane_b32 s82, v3, 20                                 // 000000007624: D2890052 00012903
	s_and_b32 s82, s82, 0xffffff                               // 00000000762C: 8652FF52 00FFFFFF
	s_cmp_lt_u32 s82, s66                                      // 000000007634: BF0A4252
	s_cselect_b32 s20, s36, s60                                // 000000007638: 85143C24
	v_readlane_b32 s82, v3, 21                                 // 00000000763C: D2890052 00012B03
	s_and_b32 s82, s82, 0xffffff                               // 000000007644: 8652FF52 00FFFFFF
	s_cmp_lt_u32 s82, s66                                      // 00000000764C: BF0A4252
	s_cselect_b32 s21, s36, s60                                // 000000007650: 85153C24
	s_mov_b64 exec, s[20:21]                                   // 000000007654: BEFE0114
	buffer_store_dword v102, v6, s[8:11], 0 offen              // 000000007658: E0701000 80026606
	s_mov_b64 exec, s[36:37]                                   // 000000007660: BEFE0124
	v_mov_b32_e32 v6, v81                                      // 000000007664: 7E0C0351
	s_mov_b64 s[60:61], 0                                      // 000000007668: BEBC0180
	v_readlane_b32 s82, v3, 22                                 // 00000000766C: D2890052 00012D03
	s_and_b32 s82, s82, 0xffffff                               // 000000007674: 8652FF52 00FFFFFF
	s_cmp_lt_u32 s82, s66                                      // 00000000767C: BF0A4252
	s_cselect_b32 s20, s36, s60                                // 000000007680: 85143C24
	v_readlane_b32 s82, v3, 23                                 // 000000007684: D2890052 00012F03
	s_and_b32 s82, s82, 0xffffff                               // 00000000768C: 8652FF52 00FFFFFF
	s_cmp_lt_u32 s82, s66                                      // 000000007694: BF0A4252
	s_cselect_b32 s21, s36, s60                                // 000000007698: 85153C24
	s_mov_b64 exec, s[20:21]                                   // 00000000769C: BEFE0114
	buffer_store_dword v103, v6, s[8:11], 0 offen              // 0000000076A0: E0701000 80026706
	s_mov_b64 exec, s[36:37]                                   // 0000000076A8: BEFE0124
	v_mov_b32_e32 v6, v82                                      // 0000000076AC: 7E0C0352
	s_mov_b64 s[60:61], 0                                      // 0000000076B0: BEBC0180
	v_readlane_b32 s82, v3, 24                                 // 0000000076B4: D2890052 00013103
	s_and_b32 s82, s82, 0xffffff                               // 0000000076BC: 8652FF52 00FFFFFF
	s_cmp_lt_u32 s82, s66                                      // 0000000076C4: BF0A4252
	s_cselect_b32 s20, s36, s60                                // 0000000076C8: 85143C24
	v_readlane_b32 s82, v3, 25                                 // 0000000076CC: D2890052 00013303
	s_and_b32 s82, s82, 0xffffff                               // 0000000076D4: 8652FF52 00FFFFFF
	s_cmp_lt_u32 s82, s66                                      // 0000000076DC: BF0A4252
	s_cselect_b32 s21, s36, s60                                // 0000000076E0: 85153C24
	s_mov_b64 exec, s[20:21]                                   // 0000000076E4: BEFE0114
	buffer_store_dword v104, v6, s[8:11], 0 offen              // 0000000076E8: E0701000 80026806
	s_mov_b64 exec, s[36:37]                                   // 0000000076F0: BEFE0124
	v_mov_b32_e32 v6, v83                                      // 0000000076F4: 7E0C0353
	s_mov_b64 s[60:61], 0                                      // 0000000076F8: BEBC0180
	v_readlane_b32 s82, v3, 26                                 // 0000000076FC: D2890052 00013503
	s_and_b32 s82, s82, 0xffffff                               // 000000007704: 8652FF52 00FFFFFF
	s_cmp_lt_u32 s82, s66                                      // 00000000770C: BF0A4252
	s_cselect_b32 s20, s36, s60                                // 000000007710: 85143C24
	v_readlane_b32 s82, v3, 27                                 // 000000007714: D2890052 00013703
	s_and_b32 s82, s82, 0xffffff                               // 00000000771C: 8652FF52 00FFFFFF
	s_cmp_lt_u32 s82, s66                                      // 000000007724: BF0A4252
	s_cselect_b32 s21, s36, s60                                // 000000007728: 85153C24
	s_mov_b64 exec, s[20:21]                                   // 00000000772C: BEFE0114
	buffer_store_dword v105, v6, s[8:11], 0 offen              // 000000007730: E0701000 80026906
	s_mov_b64 exec, s[36:37]                                   // 000000007738: BEFE0124
	v_mov_b32_e32 v6, v84                                      // 00000000773C: 7E0C0354
	s_mov_b64 s[60:61], 0                                      // 000000007740: BEBC0180
	v_readlane_b32 s82, v3, 28                                 // 000000007744: D2890052 00013903
	s_and_b32 s82, s82, 0xffffff                               // 00000000774C: 8652FF52 00FFFFFF
	s_cmp_lt_u32 s82, s66                                      // 000000007754: BF0A4252
	s_cselect_b32 s20, s36, s60                                // 000000007758: 85143C24
	v_readlane_b32 s82, v3, 29                                 // 00000000775C: D2890052 00013B03
	s_and_b32 s82, s82, 0xffffff                               // 000000007764: 8652FF52 00FFFFFF
	s_cmp_lt_u32 s82, s66                                      // 00000000776C: BF0A4252
	s_cselect_b32 s21, s36, s60                                // 000000007770: 85153C24
	s_mov_b64 exec, s[20:21]                                   // 000000007774: BEFE0114
	buffer_store_dword v106, v6, s[8:11], 0 offen              // 000000007778: E0701000 80026A06
	s_mov_b64 exec, s[36:37]                                   // 000000007780: BEFE0124
	v_mov_b32_e32 v6, v85                                      // 000000007784: 7E0C0355
	s_mov_b64 s[60:61], 0                                      // 000000007788: BEBC0180
	v_readlane_b32 s82, v3, 30                                 // 00000000778C: D2890052 00013D03
	s_and_b32 s82, s82, 0xffffff                               // 000000007794: 8652FF52 00FFFFFF
	s_cmp_lt_u32 s82, s66                                      // 00000000779C: BF0A4252
	s_cselect_b32 s20, s36, s60                                // 0000000077A0: 85143C24
	v_readlane_b32 s82, v3, 31                                 // 0000000077A4: D2890052 00013F03
	s_and_b32 s82, s82, 0xffffff                               // 0000000077AC: 8652FF52 00FFFFFF
	s_cmp_lt_u32 s82, s66                                      // 0000000077B4: BF0A4252
	s_cselect_b32 s21, s36, s60                                // 0000000077B8: 85153C24
	s_mov_b64 exec, s[20:21]                                   // 0000000077BC: BEFE0114
	buffer_store_dword v107, v6, s[8:11], 0 offen              // 0000000077C0: E0701000 80026B06
	s_mov_b64 exec, s[36:37]                                   // 0000000077C8: BEFE0124
	v_mov_b32_e32 v6, v86                                      // 0000000077CC: 7E0C0356
	s_mov_b64 s[60:61], 0                                      // 0000000077D0: BEBC0180
	v_readlane_b32 s82, v3, 32                                 // 0000000077D4: D2890052 00014103
	s_and_b32 s82, s82, 0xffffff                               // 0000000077DC: 8652FF52 00FFFFFF
	s_cmp_lt_u32 s82, s66                                      // 0000000077E4: BF0A4252
	s_cselect_b32 s20, s36, s60                                // 0000000077E8: 85143C24
	v_readlane_b32 s82, v3, 33                                 // 0000000077EC: D2890052 00014303
	s_and_b32 s82, s82, 0xffffff                               // 0000000077F4: 8652FF52 00FFFFFF
	s_cmp_lt_u32 s82, s66                                      // 0000000077FC: BF0A4252
	s_cselect_b32 s21, s36, s60                                // 000000007800: 85153C24
	s_mov_b64 exec, s[20:21]                                   // 000000007804: BEFE0114
	buffer_store_dword v108, v6, s[8:11], 0 offen              // 000000007808: E0701000 80026C06
	s_mov_b64 exec, s[36:37]                                   // 000000007810: BEFE0124
	v_mov_b32_e32 v6, v87                                      // 000000007814: 7E0C0357
	s_mov_b64 s[60:61], 0                                      // 000000007818: BEBC0180
	v_readlane_b32 s82, v3, 34                                 // 00000000781C: D2890052 00014503
	s_and_b32 s82, s82, 0xffffff                               // 000000007824: 8652FF52 00FFFFFF
	s_cmp_lt_u32 s82, s66                                      // 00000000782C: BF0A4252
	s_cselect_b32 s20, s36, s60                                // 000000007830: 85143C24
	v_readlane_b32 s82, v3, 35                                 // 000000007834: D2890052 00014703
	s_and_b32 s82, s82, 0xffffff                               // 00000000783C: 8652FF52 00FFFFFF
	s_cmp_lt_u32 s82, s66                                      // 000000007844: BF0A4252
	s_cselect_b32 s21, s36, s60                                // 000000007848: 85153C24
	s_mov_b64 exec, s[20:21]                                   // 00000000784C: BEFE0114
	buffer_store_dword v109, v6, s[8:11], 0 offen              // 000000007850: E0701000 80026D06
	s_mov_b64 exec, s[36:37]                                   // 000000007858: BEFE0124
	v_mov_b32_e32 v6, v88                                      // 00000000785C: 7E0C0358
	s_mov_b64 s[60:61], 0                                      // 000000007860: BEBC0180
	v_readlane_b32 s82, v3, 36                                 // 000000007864: D2890052 00014903
	s_and_b32 s82, s82, 0xffffff                               // 00000000786C: 8652FF52 00FFFFFF
	s_cmp_lt_u32 s82, s66                                      // 000000007874: BF0A4252
	s_cselect_b32 s20, s36, s60                                // 000000007878: 85143C24
	v_readlane_b32 s82, v3, 37                                 // 00000000787C: D2890052 00014B03
	s_and_b32 s82, s82, 0xffffff                               // 000000007884: 8652FF52 00FFFFFF
	s_cmp_lt_u32 s82, s66                                      // 00000000788C: BF0A4252
	s_cselect_b32 s21, s36, s60                                // 000000007890: 85153C24
	s_mov_b64 exec, s[20:21]                                   // 000000007894: BEFE0114
	buffer_store_dword v110, v6, s[8:11], 0 offen              // 000000007898: E0701000 80026E06
	s_mov_b64 exec, s[36:37]                                   // 0000000078A0: BEFE0124
	v_mov_b32_e32 v6, v89                                      // 0000000078A4: 7E0C0359
	s_mov_b64 s[60:61], 0                                      // 0000000078A8: BEBC0180
	v_readlane_b32 s82, v3, 38                                 // 0000000078AC: D2890052 00014D03
	s_and_b32 s82, s82, 0xffffff                               // 0000000078B4: 8652FF52 00FFFFFF
	s_cmp_lt_u32 s82, s66                                      // 0000000078BC: BF0A4252
	s_cselect_b32 s20, s36, s60                                // 0000000078C0: 85143C24
	v_readlane_b32 s82, v3, 39                                 // 0000000078C4: D2890052 00014F03
	s_and_b32 s82, s82, 0xffffff                               // 0000000078CC: 8652FF52 00FFFFFF
	s_cmp_lt_u32 s82, s66                                      // 0000000078D4: BF0A4252
	s_cselect_b32 s21, s36, s60                                // 0000000078D8: 85153C24
	s_mov_b64 exec, s[20:21]                                   // 0000000078DC: BEFE0114
	buffer_store_dword v111, v6, s[8:11], 0 offen              // 0000000078E0: E0701000 80026F06
	s_mov_b64 exec, s[36:37]                                   // 0000000078E8: BEFE0124
	s_branch label_3463                                        // 0000000078EC: BF8220A4

00000000000078f0 <label_13BC>:
	ds_write_b64 v20, v[92:93]                                 // 0000000078F0: D89A0000 00005C14
	ds_write_b64 v20, v[96:97] offset:2176                     // 0000000078F8: D89A0880 00006014
	ds_write_b64 v20, v[100:101] offset:4352                   // 000000007900: D89A1100 00006414
	ds_write_b64 v20, v[104:105] offset:6528                   // 000000007908: D89A1980 00006814
	ds_write_b64 v20, v[108:109] offset:8704                   // 000000007910: D89A2200 00006C14
	ds_write_b64 v20, v[112:113] offset:10880                  // 000000007918: D89A2A80 00007014
	ds_write_b64 v20, v[116:117] offset:13056                  // 000000007920: D89A3300 00007414
	ds_write_b64 v20, v[120:121] offset:15232                  // 000000007928: D89A3B80 00007814
	ds_write_b64 v20, v[124:125] offset:17408                  // 000000007930: D89A4400 00007C14
	ds_write_b64 v20, v[128:129] offset:19584                  // 000000007938: D89A4C80 00008014
	v_lshrrev_b32_e32 v4, 5, v0                                // 000000007940: 20080085
	v_xor_b32_e32 v5, 1, v4                                    // 000000007944: 2A0A0881
	s_mul_i32 s60, s65, 2                                      // 000000007948: 923C8241
	s_cmp_eq_u32 s88, 0                                        // 00000000794C: BF068058
	s_cselect_b32 s61, 1, 4                                    // 000000007950: 853D8481
	s_mul_i32 s60, s61, s60                                    // 000000007954: 923C3C3D
	v_readlane_b32 s82, v3, 0                                  // 000000007958: D2890052 00010103
	s_lshr_b32 s61, s82, 24                                    // 000000007960: 8F3D9852
	s_and_b32 s82, s82, 0xffffff                               // 000000007964: 8652FF52 00FFFFFF
	s_mul_i32 s82, s82, s71                                    // 00000000796C: 92524752
	s_mul_i32 s61, s60, s61                                    // 000000007970: 923D3D3C
	s_add_u32 s82, s82, s61                                    // 000000007974: 80523D52
	v_mul_lo_u32 v6, v5, s82                                   // 000000007978: D2850006 0000A505
	v_readlane_b32 s82, v3, 1                                  // 000000007980: D2890052 00010303
	s_lshr_b32 s61, s82, 24                                    // 000000007988: 8F3D9852
	s_and_b32 s82, s82, 0xffffff                               // 00000000798C: 8652FF52 00FFFFFF
	s_mul_i32 s82, s82, s71                                    // 000000007994: 92524752
	s_mul_i32 s61, s60, s61                                    // 000000007998: 923D3D3C
	s_add_u32 s82, s82, s61                                    // 00000000799C: 80523D52
	v_mul_lo_u32 v7, v4, s82                                   // 0000000079A0: D2850007 0000A504
	v_add_u32_e32 v70, v6, v7                                  // 0000000079A8: 688C0F06
	v_readlane_b32 s82, v3, 2                                  // 0000000079AC: D2890052 00010503
	s_lshr_b32 s61, s82, 24                                    // 0000000079B4: 8F3D9852
	s_and_b32 s82, s82, 0xffffff                               // 0000000079B8: 8652FF52 00FFFFFF
	s_mul_i32 s82, s82, s71                                    // 0000000079C0: 92524752
	s_mul_i32 s61, s60, s61                                    // 0000000079C4: 923D3D3C
	s_add_u32 s82, s82, s61                                    // 0000000079C8: 80523D52
	v_mul_lo_u32 v6, v5, s82                                   // 0000000079CC: D2850006 0000A505
	v_readlane_b32 s82, v3, 3                                  // 0000000079D4: D2890052 00010703
	s_lshr_b32 s61, s82, 24                                    // 0000000079DC: 8F3D9852
	s_and_b32 s82, s82, 0xffffff                               // 0000000079E0: 8652FF52 00FFFFFF
	s_mul_i32 s82, s82, s71                                    // 0000000079E8: 92524752
	s_mul_i32 s61, s60, s61                                    // 0000000079EC: 923D3D3C
	s_add_u32 s82, s82, s61                                    // 0000000079F0: 80523D52
	v_mul_lo_u32 v7, v4, s82                                   // 0000000079F4: D2850007 0000A504
	v_add_u32_e32 v71, v6, v7                                  // 0000000079FC: 688E0F06
	v_readlane_b32 s82, v3, 4                                  // 000000007A00: D2890052 00010903
	s_lshr_b32 s61, s82, 24                                    // 000000007A08: 8F3D9852
	s_and_b32 s82, s82, 0xffffff                               // 000000007A0C: 8652FF52 00FFFFFF
	s_mul_i32 s82, s82, s71                                    // 000000007A14: 92524752
	s_mul_i32 s61, s60, s61                                    // 000000007A18: 923D3D3C
	s_add_u32 s82, s82, s61                                    // 000000007A1C: 80523D52
	v_mul_lo_u32 v6, v5, s82                                   // 000000007A20: D2850006 0000A505
	v_readlane_b32 s82, v3, 5                                  // 000000007A28: D2890052 00010B03
	s_lshr_b32 s61, s82, 24                                    // 000000007A30: 8F3D9852
	s_and_b32 s82, s82, 0xffffff                               // 000000007A34: 8652FF52 00FFFFFF
	s_mul_i32 s82, s82, s71                                    // 000000007A3C: 92524752
	s_mul_i32 s61, s60, s61                                    // 000000007A40: 923D3D3C
	s_add_u32 s82, s82, s61                                    // 000000007A44: 80523D52
	v_mul_lo_u32 v7, v4, s82                                   // 000000007A48: D2850007 0000A504
	v_add_u32_e32 v72, v6, v7                                  // 000000007A50: 68900F06
	v_readlane_b32 s82, v3, 6                                  // 000000007A54: D2890052 00010D03
	s_lshr_b32 s61, s82, 24                                    // 000000007A5C: 8F3D9852
	s_and_b32 s82, s82, 0xffffff                               // 000000007A60: 8652FF52 00FFFFFF
	s_mul_i32 s82, s82, s71                                    // 000000007A68: 92524752
	s_mul_i32 s61, s60, s61                                    // 000000007A6C: 923D3D3C
	s_add_u32 s82, s82, s61                                    // 000000007A70: 80523D52
	v_mul_lo_u32 v6, v5, s82                                   // 000000007A74: D2850006 0000A505
	v_readlane_b32 s82, v3, 7                                  // 000000007A7C: D2890052 00010F03
	s_lshr_b32 s61, s82, 24                                    // 000000007A84: 8F3D9852
	s_and_b32 s82, s82, 0xffffff                               // 000000007A88: 8652FF52 00FFFFFF
	s_mul_i32 s82, s82, s71                                    // 000000007A90: 92524752
	s_mul_i32 s61, s60, s61                                    // 000000007A94: 923D3D3C
	s_add_u32 s82, s82, s61                                    // 000000007A98: 80523D52
	v_mul_lo_u32 v7, v4, s82                                   // 000000007A9C: D2850007 0000A504
	v_add_u32_e32 v73, v6, v7                                  // 000000007AA4: 68920F06
	v_readlane_b32 s82, v3, 8                                  // 000000007AA8: D2890052 00011103
	s_lshr_b32 s61, s82, 24                                    // 000000007AB0: 8F3D9852
	s_and_b32 s82, s82, 0xffffff                               // 000000007AB4: 8652FF52 00FFFFFF
	s_mul_i32 s82, s82, s71                                    // 000000007ABC: 92524752
	s_mul_i32 s61, s60, s61                                    // 000000007AC0: 923D3D3C
	s_add_u32 s82, s82, s61                                    // 000000007AC4: 80523D52
	v_mul_lo_u32 v6, v5, s82                                   // 000000007AC8: D2850006 0000A505
	v_readlane_b32 s82, v3, 9                                  // 000000007AD0: D2890052 00011303
	s_lshr_b32 s61, s82, 24                                    // 000000007AD8: 8F3D9852
	s_and_b32 s82, s82, 0xffffff                               // 000000007ADC: 8652FF52 00FFFFFF
	s_mul_i32 s82, s82, s71                                    // 000000007AE4: 92524752
	s_mul_i32 s61, s60, s61                                    // 000000007AE8: 923D3D3C
	s_add_u32 s82, s82, s61                                    // 000000007AEC: 80523D52
	v_mul_lo_u32 v7, v4, s82                                   // 000000007AF0: D2850007 0000A504
	v_add_u32_e32 v74, v6, v7                                  // 000000007AF8: 68940F06
	v_readlane_b32 s82, v3, 10                                 // 000000007AFC: D2890052 00011503
	s_lshr_b32 s61, s82, 24                                    // 000000007B04: 8F3D9852
	s_and_b32 s82, s82, 0xffffff                               // 000000007B08: 8652FF52 00FFFFFF
	s_mul_i32 s82, s82, s71                                    // 000000007B10: 92524752
	s_mul_i32 s61, s60, s61                                    // 000000007B14: 923D3D3C
	s_add_u32 s82, s82, s61                                    // 000000007B18: 80523D52
	v_mul_lo_u32 v6, v5, s82                                   // 000000007B1C: D2850006 0000A505
	v_readlane_b32 s82, v3, 11                                 // 000000007B24: D2890052 00011703
	s_lshr_b32 s61, s82, 24                                    // 000000007B2C: 8F3D9852
	s_and_b32 s82, s82, 0xffffff                               // 000000007B30: 8652FF52 00FFFFFF
	s_mul_i32 s82, s82, s71                                    // 000000007B38: 92524752
	s_mul_i32 s61, s60, s61                                    // 000000007B3C: 923D3D3C
	s_add_u32 s82, s82, s61                                    // 000000007B40: 80523D52
	v_mul_lo_u32 v7, v4, s82                                   // 000000007B44: D2850007 0000A504
	v_add_u32_e32 v75, v6, v7                                  // 000000007B4C: 68960F06
	v_readlane_b32 s82, v3, 12                                 // 000000007B50: D2890052 00011903
	s_lshr_b32 s61, s82, 24                                    // 000000007B58: 8F3D9852
	s_and_b32 s82, s82, 0xffffff                               // 000000007B5C: 8652FF52 00FFFFFF
	s_mul_i32 s82, s82, s71                                    // 000000007B64: 92524752
	s_mul_i32 s61, s60, s61                                    // 000000007B68: 923D3D3C
	s_add_u32 s82, s82, s61                                    // 000000007B6C: 80523D52
	v_mul_lo_u32 v6, v5, s82                                   // 000000007B70: D2850006 0000A505
	v_readlane_b32 s82, v3, 13                                 // 000000007B78: D2890052 00011B03
	s_lshr_b32 s61, s82, 24                                    // 000000007B80: 8F3D9852
	s_and_b32 s82, s82, 0xffffff                               // 000000007B84: 8652FF52 00FFFFFF
	s_mul_i32 s82, s82, s71                                    // 000000007B8C: 92524752
	s_mul_i32 s61, s60, s61                                    // 000000007B90: 923D3D3C
	s_add_u32 s82, s82, s61                                    // 000000007B94: 80523D52
	v_mul_lo_u32 v7, v4, s82                                   // 000000007B98: D2850007 0000A504
	v_add_u32_e32 v76, v6, v7                                  // 000000007BA0: 68980F06
	v_readlane_b32 s82, v3, 14                                 // 000000007BA4: D2890052 00011D03
	s_lshr_b32 s61, s82, 24                                    // 000000007BAC: 8F3D9852
	s_and_b32 s82, s82, 0xffffff                               // 000000007BB0: 8652FF52 00FFFFFF
	s_mul_i32 s82, s82, s71                                    // 000000007BB8: 92524752
	s_mul_i32 s61, s60, s61                                    // 000000007BBC: 923D3D3C
	s_add_u32 s82, s82, s61                                    // 000000007BC0: 80523D52
	v_mul_lo_u32 v6, v5, s82                                   // 000000007BC4: D2850006 0000A505
	v_readlane_b32 s82, v3, 15                                 // 000000007BCC: D2890052 00011F03
	s_lshr_b32 s61, s82, 24                                    // 000000007BD4: 8F3D9852
	s_and_b32 s82, s82, 0xffffff                               // 000000007BD8: 8652FF52 00FFFFFF
	s_mul_i32 s82, s82, s71                                    // 000000007BE0: 92524752
	s_mul_i32 s61, s60, s61                                    // 000000007BE4: 923D3D3C
	s_add_u32 s82, s82, s61                                    // 000000007BE8: 80523D52
	v_mul_lo_u32 v7, v4, s82                                   // 000000007BEC: D2850007 0000A504
	v_add_u32_e32 v77, v6, v7                                  // 000000007BF4: 689A0F06
	v_readlane_b32 s82, v3, 16                                 // 000000007BF8: D2890052 00012103
	s_lshr_b32 s61, s82, 24                                    // 000000007C00: 8F3D9852
	s_and_b32 s82, s82, 0xffffff                               // 000000007C04: 8652FF52 00FFFFFF
	s_mul_i32 s82, s82, s71                                    // 000000007C0C: 92524752
	s_mul_i32 s61, s60, s61                                    // 000000007C10: 923D3D3C
	s_add_u32 s82, s82, s61                                    // 000000007C14: 80523D52
	v_mul_lo_u32 v6, v5, s82                                   // 000000007C18: D2850006 0000A505
	v_readlane_b32 s82, v3, 17                                 // 000000007C20: D2890052 00012303
	s_lshr_b32 s61, s82, 24                                    // 000000007C28: 8F3D9852
	s_and_b32 s82, s82, 0xffffff                               // 000000007C2C: 8652FF52 00FFFFFF
	s_mul_i32 s82, s82, s71                                    // 000000007C34: 92524752
	s_mul_i32 s61, s60, s61                                    // 000000007C38: 923D3D3C
	s_add_u32 s82, s82, s61                                    // 000000007C3C: 80523D52
	v_mul_lo_u32 v7, v4, s82                                   // 000000007C40: D2850007 0000A504
	v_add_u32_e32 v78, v6, v7                                  // 000000007C48: 689C0F06
	v_readlane_b32 s82, v3, 18                                 // 000000007C4C: D2890052 00012503
	s_lshr_b32 s61, s82, 24                                    // 000000007C54: 8F3D9852
	s_and_b32 s82, s82, 0xffffff                               // 000000007C58: 8652FF52 00FFFFFF
	s_mul_i32 s82, s82, s71                                    // 000000007C60: 92524752
	s_mul_i32 s61, s60, s61                                    // 000000007C64: 923D3D3C
	s_add_u32 s82, s82, s61                                    // 000000007C68: 80523D52
	v_mul_lo_u32 v6, v5, s82                                   // 000000007C6C: D2850006 0000A505
	v_readlane_b32 s82, v3, 19                                 // 000000007C74: D2890052 00012703
	s_lshr_b32 s61, s82, 24                                    // 000000007C7C: 8F3D9852
	s_and_b32 s82, s82, 0xffffff                               // 000000007C80: 8652FF52 00FFFFFF
	s_mul_i32 s82, s82, s71                                    // 000000007C88: 92524752
	s_mul_i32 s61, s60, s61                                    // 000000007C8C: 923D3D3C
	s_add_u32 s82, s82, s61                                    // 000000007C90: 80523D52
	v_mul_lo_u32 v7, v4, s82                                   // 000000007C94: D2850007 0000A504
	v_add_u32_e32 v79, v6, v7                                  // 000000007C9C: 689E0F06
	v_readlane_b32 s82, v3, 20                                 // 000000007CA0: D2890052 00012903
	s_lshr_b32 s61, s82, 24                                    // 000000007CA8: 8F3D9852
	s_and_b32 s82, s82, 0xffffff                               // 000000007CAC: 8652FF52 00FFFFFF
	s_mul_i32 s82, s82, s71                                    // 000000007CB4: 92524752
	s_mul_i32 s61, s60, s61                                    // 000000007CB8: 923D3D3C
	s_add_u32 s82, s82, s61                                    // 000000007CBC: 80523D52
	v_mul_lo_u32 v6, v5, s82                                   // 000000007CC0: D2850006 0000A505
	v_readlane_b32 s82, v3, 21                                 // 000000007CC8: D2890052 00012B03
	s_lshr_b32 s61, s82, 24                                    // 000000007CD0: 8F3D9852
	s_and_b32 s82, s82, 0xffffff                               // 000000007CD4: 8652FF52 00FFFFFF
	s_mul_i32 s82, s82, s71                                    // 000000007CDC: 92524752
	s_mul_i32 s61, s60, s61                                    // 000000007CE0: 923D3D3C
	s_add_u32 s82, s82, s61                                    // 000000007CE4: 80523D52
	v_mul_lo_u32 v7, v4, s82                                   // 000000007CE8: D2850007 0000A504
	v_add_u32_e32 v80, v6, v7                                  // 000000007CF0: 68A00F06
	v_readlane_b32 s82, v3, 22                                 // 000000007CF4: D2890052 00012D03
	s_lshr_b32 s61, s82, 24                                    // 000000007CFC: 8F3D9852
	s_and_b32 s82, s82, 0xffffff                               // 000000007D00: 8652FF52 00FFFFFF
	s_mul_i32 s82, s82, s71                                    // 000000007D08: 92524752
	s_mul_i32 s61, s60, s61                                    // 000000007D0C: 923D3D3C
	s_add_u32 s82, s82, s61                                    // 000000007D10: 80523D52
	v_mul_lo_u32 v6, v5, s82                                   // 000000007D14: D2850006 0000A505
	v_readlane_b32 s82, v3, 23                                 // 000000007D1C: D2890052 00012F03
	s_lshr_b32 s61, s82, 24                                    // 000000007D24: 8F3D9852
	s_and_b32 s82, s82, 0xffffff                               // 000000007D28: 8652FF52 00FFFFFF
	s_mul_i32 s82, s82, s71                                    // 000000007D30: 92524752
	s_mul_i32 s61, s60, s61                                    // 000000007D34: 923D3D3C
	s_add_u32 s82, s82, s61                                    // 000000007D38: 80523D52
	v_mul_lo_u32 v7, v4, s82                                   // 000000007D3C: D2850007 0000A504
	v_add_u32_e32 v81, v6, v7                                  // 000000007D44: 68A20F06
	v_readlane_b32 s82, v3, 24                                 // 000000007D48: D2890052 00013103
	s_lshr_b32 s61, s82, 24                                    // 000000007D50: 8F3D9852
	s_and_b32 s82, s82, 0xffffff                               // 000000007D54: 8652FF52 00FFFFFF
	s_mul_i32 s82, s82, s71                                    // 000000007D5C: 92524752
	s_mul_i32 s61, s60, s61                                    // 000000007D60: 923D3D3C
	s_add_u32 s82, s82, s61                                    // 000000007D64: 80523D52
	v_mul_lo_u32 v6, v5, s82                                   // 000000007D68: D2850006 0000A505
	v_readlane_b32 s82, v3, 25                                 // 000000007D70: D2890052 00013303
	s_lshr_b32 s61, s82, 24                                    // 000000007D78: 8F3D9852
	s_and_b32 s82, s82, 0xffffff                               // 000000007D7C: 8652FF52 00FFFFFF
	s_mul_i32 s82, s82, s71                                    // 000000007D84: 92524752
	s_mul_i32 s61, s60, s61                                    // 000000007D88: 923D3D3C
	s_add_u32 s82, s82, s61                                    // 000000007D8C: 80523D52
	v_mul_lo_u32 v7, v4, s82                                   // 000000007D90: D2850007 0000A504
	v_add_u32_e32 v82, v6, v7                                  // 000000007D98: 68A40F06
	v_readlane_b32 s82, v3, 26                                 // 000000007D9C: D2890052 00013503
	s_lshr_b32 s61, s82, 24                                    // 000000007DA4: 8F3D9852
	s_and_b32 s82, s82, 0xffffff                               // 000000007DA8: 8652FF52 00FFFFFF
	s_mul_i32 s82, s82, s71                                    // 000000007DB0: 92524752
	s_mul_i32 s61, s60, s61                                    // 000000007DB4: 923D3D3C
	s_add_u32 s82, s82, s61                                    // 000000007DB8: 80523D52
	v_mul_lo_u32 v6, v5, s82                                   // 000000007DBC: D2850006 0000A505
	v_readlane_b32 s82, v3, 27                                 // 000000007DC4: D2890052 00013703
	s_lshr_b32 s61, s82, 24                                    // 000000007DCC: 8F3D9852
	s_and_b32 s82, s82, 0xffffff                               // 000000007DD0: 8652FF52 00FFFFFF
	s_mul_i32 s82, s82, s71                                    // 000000007DD8: 92524752
	s_mul_i32 s61, s60, s61                                    // 000000007DDC: 923D3D3C
	s_add_u32 s82, s82, s61                                    // 000000007DE0: 80523D52
	v_mul_lo_u32 v7, v4, s82                                   // 000000007DE4: D2850007 0000A504
	v_add_u32_e32 v83, v6, v7                                  // 000000007DEC: 68A60F06
	v_readlane_b32 s82, v3, 28                                 // 000000007DF0: D2890052 00013903
	s_lshr_b32 s61, s82, 24                                    // 000000007DF8: 8F3D9852
	s_and_b32 s82, s82, 0xffffff                               // 000000007DFC: 8652FF52 00FFFFFF
	s_mul_i32 s82, s82, s71                                    // 000000007E04: 92524752
	s_mul_i32 s61, s60, s61                                    // 000000007E08: 923D3D3C
	s_add_u32 s82, s82, s61                                    // 000000007E0C: 80523D52
	v_mul_lo_u32 v6, v5, s82                                   // 000000007E10: D2850006 0000A505
	v_readlane_b32 s82, v3, 29                                 // 000000007E18: D2890052 00013B03
	s_lshr_b32 s61, s82, 24                                    // 000000007E20: 8F3D9852
	s_and_b32 s82, s82, 0xffffff                               // 000000007E24: 8652FF52 00FFFFFF
	s_mul_i32 s82, s82, s71                                    // 000000007E2C: 92524752
	s_mul_i32 s61, s60, s61                                    // 000000007E30: 923D3D3C
	s_add_u32 s82, s82, s61                                    // 000000007E34: 80523D52
	v_mul_lo_u32 v7, v4, s82                                   // 000000007E38: D2850007 0000A504
	v_add_u32_e32 v84, v6, v7                                  // 000000007E40: 68A80F06
	v_readlane_b32 s82, v3, 30                                 // 000000007E44: D2890052 00013D03
	s_lshr_b32 s61, s82, 24                                    // 000000007E4C: 8F3D9852
	s_and_b32 s82, s82, 0xffffff                               // 000000007E50: 8652FF52 00FFFFFF
	s_mul_i32 s82, s82, s71                                    // 000000007E58: 92524752
	s_mul_i32 s61, s60, s61                                    // 000000007E5C: 923D3D3C
	s_add_u32 s82, s82, s61                                    // 000000007E60: 80523D52
	v_mul_lo_u32 v6, v5, s82                                   // 000000007E64: D2850006 0000A505
	v_readlane_b32 s82, v3, 31                                 // 000000007E6C: D2890052 00013F03
	s_lshr_b32 s61, s82, 24                                    // 000000007E74: 8F3D9852
	s_and_b32 s82, s82, 0xffffff                               // 000000007E78: 8652FF52 00FFFFFF
	s_mul_i32 s82, s82, s71                                    // 000000007E80: 92524752
	s_mul_i32 s61, s60, s61                                    // 000000007E84: 923D3D3C
	s_add_u32 s82, s82, s61                                    // 000000007E88: 80523D52
	v_mul_lo_u32 v7, v4, s82                                   // 000000007E8C: D2850007 0000A504
	v_add_u32_e32 v85, v6, v7                                  // 000000007E94: 68AA0F06
	v_readlane_b32 s82, v3, 32                                 // 000000007E98: D2890052 00014103
	s_lshr_b32 s61, s82, 24                                    // 000000007EA0: 8F3D9852
	s_and_b32 s82, s82, 0xffffff                               // 000000007EA4: 8652FF52 00FFFFFF
	s_mul_i32 s82, s82, s71                                    // 000000007EAC: 92524752
	s_mul_i32 s61, s60, s61                                    // 000000007EB0: 923D3D3C
	s_add_u32 s82, s82, s61                                    // 000000007EB4: 80523D52
	v_mul_lo_u32 v6, v5, s82                                   // 000000007EB8: D2850006 0000A505
	v_readlane_b32 s82, v3, 33                                 // 000000007EC0: D2890052 00014303
	s_lshr_b32 s61, s82, 24                                    // 000000007EC8: 8F3D9852
	s_and_b32 s82, s82, 0xffffff                               // 000000007ECC: 8652FF52 00FFFFFF
	s_mul_i32 s82, s82, s71                                    // 000000007ED4: 92524752
	s_mul_i32 s61, s60, s61                                    // 000000007ED8: 923D3D3C
	s_add_u32 s82, s82, s61                                    // 000000007EDC: 80523D52
	v_mul_lo_u32 v7, v4, s82                                   // 000000007EE0: D2850007 0000A504
	v_add_u32_e32 v86, v6, v7                                  // 000000007EE8: 68AC0F06
	v_readlane_b32 s82, v3, 34                                 // 000000007EEC: D2890052 00014503
	s_lshr_b32 s61, s82, 24                                    // 000000007EF4: 8F3D9852
	s_and_b32 s82, s82, 0xffffff                               // 000000007EF8: 8652FF52 00FFFFFF
	s_mul_i32 s82, s82, s71                                    // 000000007F00: 92524752
	s_mul_i32 s61, s60, s61                                    // 000000007F04: 923D3D3C
	s_add_u32 s82, s82, s61                                    // 000000007F08: 80523D52
	v_mul_lo_u32 v6, v5, s82                                   // 000000007F0C: D2850006 0000A505
	v_readlane_b32 s82, v3, 35                                 // 000000007F14: D2890052 00014703
	s_lshr_b32 s61, s82, 24                                    // 000000007F1C: 8F3D9852
	s_and_b32 s82, s82, 0xffffff                               // 000000007F20: 8652FF52 00FFFFFF
	s_mul_i32 s82, s82, s71                                    // 000000007F28: 92524752
	s_mul_i32 s61, s60, s61                                    // 000000007F2C: 923D3D3C
	s_add_u32 s82, s82, s61                                    // 000000007F30: 80523D52
	v_mul_lo_u32 v7, v4, s82                                   // 000000007F34: D2850007 0000A504
	v_add_u32_e32 v87, v6, v7                                  // 000000007F3C: 68AE0F06
	v_readlane_b32 s82, v3, 36                                 // 000000007F40: D2890052 00014903
	s_lshr_b32 s61, s82, 24                                    // 000000007F48: 8F3D9852
	s_and_b32 s82, s82, 0xffffff                               // 000000007F4C: 8652FF52 00FFFFFF
	s_mul_i32 s82, s82, s71                                    // 000000007F54: 92524752
	s_mul_i32 s61, s60, s61                                    // 000000007F58: 923D3D3C
	s_add_u32 s82, s82, s61                                    // 000000007F5C: 80523D52
	v_mul_lo_u32 v6, v5, s82                                   // 000000007F60: D2850006 0000A505
	v_readlane_b32 s82, v3, 37                                 // 000000007F68: D2890052 00014B03
	s_lshr_b32 s61, s82, 24                                    // 000000007F70: 8F3D9852
	s_and_b32 s82, s82, 0xffffff                               // 000000007F74: 8652FF52 00FFFFFF
	s_mul_i32 s82, s82, s71                                    // 000000007F7C: 92524752
	s_mul_i32 s61, s60, s61                                    // 000000007F80: 923D3D3C
	s_add_u32 s82, s82, s61                                    // 000000007F84: 80523D52
	v_mul_lo_u32 v7, v4, s82                                   // 000000007F88: D2850007 0000A504
	v_add_u32_e32 v88, v6, v7                                  // 000000007F90: 68B00F06
	v_readlane_b32 s82, v3, 38                                 // 000000007F94: D2890052 00014D03
	s_lshr_b32 s61, s82, 24                                    // 000000007F9C: 8F3D9852
	s_and_b32 s82, s82, 0xffffff                               // 000000007FA0: 8652FF52 00FFFFFF
	s_mul_i32 s82, s82, s71                                    // 000000007FA8: 92524752
	s_mul_i32 s61, s60, s61                                    // 000000007FAC: 923D3D3C
	s_add_u32 s82, s82, s61                                    // 000000007FB0: 80523D52
	v_mul_lo_u32 v6, v5, s82                                   // 000000007FB4: D2850006 0000A505
	v_readlane_b32 s82, v3, 39                                 // 000000007FBC: D2890052 00014F03
	s_lshr_b32 s61, s82, 24                                    // 000000007FC4: 8F3D9852
	s_and_b32 s82, s82, 0xffffff                               // 000000007FC8: 8652FF52 00FFFFFF
	s_mul_i32 s82, s82, s71                                    // 000000007FD0: 92524752
	s_mul_i32 s61, s60, s61                                    // 000000007FD4: 923D3D3C
	s_add_u32 s82, s82, s61                                    // 000000007FD8: 80523D52
	v_mul_lo_u32 v7, v4, s82                                   // 000000007FDC: D2850007 0000A504
	v_add_u32_e32 v89, v6, v7                                  // 000000007FE4: 68B20F06
	v_and_b32_e32 v4, 31, v0                                   // 000000007FE8: 2608009F
	v_lshrrev_b32_e32 v4, 1, v4                                // 000000007FEC: 20080881
	s_cmp_eq_u32 s88, 0                                        // 000000007FF0: BF068058
	s_cselect_b32 s61, 2, 4                                    // 000000007FF4: 853D8482
	v_mul_lo_u32 v4, v4, s61                                   // 000000007FF8: D2850004 00007B04
	v_and_b32_e64 v5, v0, 1                                    // 000000008000: D1130005 00010300
	v_add_u32_e32 v4, v4, v5                                   // 000000008008: 68080B04
	v_lshlrev_b32_e32 v4, 2, v4                                // 00000000800C: 24080882
	v_add_u32_e32 v70, v70, v4                                 // 000000008010: 688C0946
	v_add_u32_e32 v71, v71, v4                                 // 000000008014: 688E0947
	v_add_u32_e32 v72, v72, v4                                 // 000000008018: 68900948
	v_add_u32_e32 v73, v73, v4                                 // 00000000801C: 68920949
	v_add_u32_e32 v74, v74, v4                                 // 000000008020: 6894094A
	v_add_u32_e32 v75, v75, v4                                 // 000000008024: 6896094B
	v_add_u32_e32 v76, v76, v4                                 // 000000008028: 6898094C
	v_add_u32_e32 v77, v77, v4                                 // 00000000802C: 689A094D
	v_add_u32_e32 v78, v78, v4                                 // 000000008030: 689C094E
	v_add_u32_e32 v79, v79, v4                                 // 000000008034: 689E094F
	v_add_u32_e32 v80, v80, v4                                 // 000000008038: 68A00950
	v_add_u32_e32 v81, v81, v4                                 // 00000000803C: 68A20951
	v_add_u32_e32 v82, v82, v4                                 // 000000008040: 68A40952
	v_add_u32_e32 v83, v83, v4                                 // 000000008044: 68A60953
	v_add_u32_e32 v84, v84, v4                                 // 000000008048: 68A80954
	v_add_u32_e32 v85, v85, v4                                 // 00000000804C: 68AA0955
	v_add_u32_e32 v86, v86, v4                                 // 000000008050: 68AC0956
	v_add_u32_e32 v87, v87, v4                                 // 000000008054: 68AE0957
	v_add_u32_e32 v88, v88, v4                                 // 000000008058: 68B00958
	v_add_u32_e32 v89, v89, v4                                 // 00000000805C: 68B20959
	s_waitcnt lgkmcnt(0)                                       // 000000008060: BF8CC07F
	s_barrier                                                  // 000000008064: BF8A0000
	ds_read_b32 v92, v21                                       // 000000008068: D86C0000 5C000015
	ds_read_b32 v93, v21 offset:64                             // 000000008070: D86C0040 5D000015
	ds_read_b32 v96, v21 offset:2176                           // 000000008078: D86C0880 60000015
	ds_read_b32 v97, v21 offset:2240                           // 000000008080: D86C08C0 61000015
	ds_read_b32 v100, v21 offset:4352                          // 000000008088: D86C1100 64000015
	ds_read_b32 v101, v21 offset:4416                          // 000000008090: D86C1140 65000015
	ds_read_b32 v104, v21 offset:6528                          // 000000008098: D86C1980 68000015
	ds_read_b32 v105, v21 offset:6592                          // 0000000080A0: D86C19C0 69000015
	ds_read_b32 v108, v21 offset:8704                          // 0000000080A8: D86C2200 6C000015
	ds_read_b32 v109, v21 offset:8768                          // 0000000080B0: D86C2240 6D000015
	ds_read_b32 v112, v21 offset:10880                         // 0000000080B8: D86C2A80 70000015
	ds_read_b32 v113, v21 offset:10944                         // 0000000080C0: D86C2AC0 71000015
	ds_read_b32 v116, v21 offset:13056                         // 0000000080C8: D86C3300 74000015
	ds_read_b32 v117, v21 offset:13120                         // 0000000080D0: D86C3340 75000015
	ds_read_b32 v120, v21 offset:15232                         // 0000000080D8: D86C3B80 78000015
	ds_read_b32 v121, v21 offset:15296                         // 0000000080E0: D86C3BC0 79000015
	ds_read_b32 v124, v21 offset:17408                         // 0000000080E8: D86C4400 7C000015
	ds_read_b32 v125, v21 offset:17472                         // 0000000080F0: D86C4440 7D000015
	ds_read_b32 v128, v21 offset:19584                         // 0000000080F8: D86C4C80 80000015
	ds_read_b32 v129, v21 offset:19648                         // 000000008100: D86C4CC0 81000015
	s_waitcnt lgkmcnt(0)                                       // 000000008108: BF8CC07F
	s_mov_b32 s36, -1                                          // 00000000810C: BEA400C1
	s_mov_b32 s37, -1                                          // 000000008110: BEA500C1
	v_mov_b32_e32 v7, 0                                        // 000000008114: 7E0E0280
	s_mov_b64 exec, s[36:37]                                   // 000000008118: BEFE0124
	v_mov_b32_e32 v6, v70                                      // 00000000811C: 7E0C0346
	s_mov_b64 s[60:61], 0                                      // 000000008120: BEBC0180
	v_readlane_b32 s82, v3, 0                                  // 000000008124: D2890052 00010103
	s_and_b32 s82, s82, 0xffffff                               // 00000000812C: 8652FF52 00FFFFFF
	s_cmp_lt_u32 s82, s66                                      // 000000008134: BF0A4252
	s_cselect_b32 s20, s36, s60                                // 000000008138: 85143C24
	v_readlane_b32 s82, v3, 1                                  // 00000000813C: D2890052 00010303
	s_and_b32 s82, s82, 0xffffff                               // 000000008144: 8652FF52 00FFFFFF
	s_cmp_lt_u32 s82, s66                                      // 00000000814C: BF0A4252
	s_cselect_b32 s21, s36, s60                                // 000000008150: 85153C24
	s_mov_b64 exec, s[20:21]                                   // 000000008154: BEFE0114
	global_atomic_add_f32 v6, v92, s[8:9]                      // 000000008158: DD348000 00085C06
	s_mov_b64 exec, s[36:37]                                   // 000000008160: BEFE0124
	v_mov_b32_e32 v6, v71                                      // 000000008164: 7E0C0347
	s_mov_b64 s[60:61], 0                                      // 000000008168: BEBC0180
	v_readlane_b32 s82, v3, 2                                  // 00000000816C: D2890052 00010503
	s_and_b32 s82, s82, 0xffffff                               // 000000008174: 8652FF52 00FFFFFF
	s_cmp_lt_u32 s82, s66                                      // 00000000817C: BF0A4252
	s_cselect_b32 s20, s36, s60                                // 000000008180: 85143C24
	v_readlane_b32 s82, v3, 3                                  // 000000008184: D2890052 00010703
	s_and_b32 s82, s82, 0xffffff                               // 00000000818C: 8652FF52 00FFFFFF
	s_cmp_lt_u32 s82, s66                                      // 000000008194: BF0A4252
	s_cselect_b32 s21, s36, s60                                // 000000008198: 85153C24
	s_mov_b64 exec, s[20:21]                                   // 00000000819C: BEFE0114
	global_atomic_add_f32 v6, v93, s[8:9]                      // 0000000081A0: DD348000 00085D06
	s_mov_b64 exec, s[36:37]                                   // 0000000081A8: BEFE0124
	v_mov_b32_e32 v6, v72                                      // 0000000081AC: 7E0C0348
	s_mov_b64 s[60:61], 0                                      // 0000000081B0: BEBC0180
	v_readlane_b32 s82, v3, 4                                  // 0000000081B4: D2890052 00010903
	s_and_b32 s82, s82, 0xffffff                               // 0000000081BC: 8652FF52 00FFFFFF
	s_cmp_lt_u32 s82, s66                                      // 0000000081C4: BF0A4252
	s_cselect_b32 s20, s36, s60                                // 0000000081C8: 85143C24
	v_readlane_b32 s82, v3, 5                                  // 0000000081CC: D2890052 00010B03
	s_and_b32 s82, s82, 0xffffff                               // 0000000081D4: 8652FF52 00FFFFFF
	s_cmp_lt_u32 s82, s66                                      // 0000000081DC: BF0A4252
	s_cselect_b32 s21, s36, s60                                // 0000000081E0: 85153C24
	s_mov_b64 exec, s[20:21]                                   // 0000000081E4: BEFE0114
	global_atomic_add_f32 v6, v96, s[8:9]                      // 0000000081E8: DD348000 00086006
	s_mov_b64 exec, s[36:37]                                   // 0000000081F0: BEFE0124
	v_mov_b32_e32 v6, v73                                      // 0000000081F4: 7E0C0349
	s_mov_b64 s[60:61], 0                                      // 0000000081F8: BEBC0180
	v_readlane_b32 s82, v3, 6                                  // 0000000081FC: D2890052 00010D03
	s_and_b32 s82, s82, 0xffffff                               // 000000008204: 8652FF52 00FFFFFF
	s_cmp_lt_u32 s82, s66                                      // 00000000820C: BF0A4252
	s_cselect_b32 s20, s36, s60                                // 000000008210: 85143C24
	v_readlane_b32 s82, v3, 7                                  // 000000008214: D2890052 00010F03
	s_and_b32 s82, s82, 0xffffff                               // 00000000821C: 8652FF52 00FFFFFF
	s_cmp_lt_u32 s82, s66                                      // 000000008224: BF0A4252
	s_cselect_b32 s21, s36, s60                                // 000000008228: 85153C24
	s_mov_b64 exec, s[20:21]                                   // 00000000822C: BEFE0114
	global_atomic_add_f32 v6, v97, s[8:9]                      // 000000008230: DD348000 00086106
	s_mov_b64 exec, s[36:37]                                   // 000000008238: BEFE0124
	v_mov_b32_e32 v6, v74                                      // 00000000823C: 7E0C034A
	s_mov_b64 s[60:61], 0                                      // 000000008240: BEBC0180
	v_readlane_b32 s82, v3, 8                                  // 000000008244: D2890052 00011103
	s_and_b32 s82, s82, 0xffffff                               // 00000000824C: 8652FF52 00FFFFFF
	s_cmp_lt_u32 s82, s66                                      // 000000008254: BF0A4252
	s_cselect_b32 s20, s36, s60                                // 000000008258: 85143C24
	v_readlane_b32 s82, v3, 9                                  // 00000000825C: D2890052 00011303
	s_and_b32 s82, s82, 0xffffff                               // 000000008264: 8652FF52 00FFFFFF
	s_cmp_lt_u32 s82, s66                                      // 00000000826C: BF0A4252
	s_cselect_b32 s21, s36, s60                                // 000000008270: 85153C24
	s_mov_b64 exec, s[20:21]                                   // 000000008274: BEFE0114
	global_atomic_add_f32 v6, v100, s[8:9]                     // 000000008278: DD348000 00086406
	s_mov_b64 exec, s[36:37]                                   // 000000008280: BEFE0124
	v_mov_b32_e32 v6, v75                                      // 000000008284: 7E0C034B
	s_mov_b64 s[60:61], 0                                      // 000000008288: BEBC0180
	v_readlane_b32 s82, v3, 10                                 // 00000000828C: D2890052 00011503
	s_and_b32 s82, s82, 0xffffff                               // 000000008294: 8652FF52 00FFFFFF
	s_cmp_lt_u32 s82, s66                                      // 00000000829C: BF0A4252
	s_cselect_b32 s20, s36, s60                                // 0000000082A0: 85143C24
	v_readlane_b32 s82, v3, 11                                 // 0000000082A4: D2890052 00011703
	s_and_b32 s82, s82, 0xffffff                               // 0000000082AC: 8652FF52 00FFFFFF
	s_cmp_lt_u32 s82, s66                                      // 0000000082B4: BF0A4252
	s_cselect_b32 s21, s36, s60                                // 0000000082B8: 85153C24
	s_mov_b64 exec, s[20:21]                                   // 0000000082BC: BEFE0114
	global_atomic_add_f32 v6, v101, s[8:9]                     // 0000000082C0: DD348000 00086506
	s_mov_b64 exec, s[36:37]                                   // 0000000082C8: BEFE0124
	v_mov_b32_e32 v6, v76                                      // 0000000082CC: 7E0C034C
	s_mov_b64 s[60:61], 0                                      // 0000000082D0: BEBC0180
	v_readlane_b32 s82, v3, 12                                 // 0000000082D4: D2890052 00011903
	s_and_b32 s82, s82, 0xffffff                               // 0000000082DC: 8652FF52 00FFFFFF
	s_cmp_lt_u32 s82, s66                                      // 0000000082E4: BF0A4252
	s_cselect_b32 s20, s36, s60                                // 0000000082E8: 85143C24
	v_readlane_b32 s82, v3, 13                                 // 0000000082EC: D2890052 00011B03
	s_and_b32 s82, s82, 0xffffff                               // 0000000082F4: 8652FF52 00FFFFFF
	s_cmp_lt_u32 s82, s66                                      // 0000000082FC: BF0A4252
	s_cselect_b32 s21, s36, s60                                // 000000008300: 85153C24
	s_mov_b64 exec, s[20:21]                                   // 000000008304: BEFE0114
	global_atomic_add_f32 v6, v104, s[8:9]                     // 000000008308: DD348000 00086806
	s_mov_b64 exec, s[36:37]                                   // 000000008310: BEFE0124
	v_mov_b32_e32 v6, v77                                      // 000000008314: 7E0C034D
	s_mov_b64 s[60:61], 0                                      // 000000008318: BEBC0180
	v_readlane_b32 s82, v3, 14                                 // 00000000831C: D2890052 00011D03
	s_and_b32 s82, s82, 0xffffff                               // 000000008324: 8652FF52 00FFFFFF
	s_cmp_lt_u32 s82, s66                                      // 00000000832C: BF0A4252
	s_cselect_b32 s20, s36, s60                                // 000000008330: 85143C24
	v_readlane_b32 s82, v3, 15                                 // 000000008334: D2890052 00011F03
	s_and_b32 s82, s82, 0xffffff                               // 00000000833C: 8652FF52 00FFFFFF
	s_cmp_lt_u32 s82, s66                                      // 000000008344: BF0A4252
	s_cselect_b32 s21, s36, s60                                // 000000008348: 85153C24
	s_mov_b64 exec, s[20:21]                                   // 00000000834C: BEFE0114
	global_atomic_add_f32 v6, v105, s[8:9]                     // 000000008350: DD348000 00086906
	s_mov_b64 exec, s[36:37]                                   // 000000008358: BEFE0124
	v_mov_b32_e32 v6, v78                                      // 00000000835C: 7E0C034E
	s_mov_b64 s[60:61], 0                                      // 000000008360: BEBC0180
	v_readlane_b32 s82, v3, 16                                 // 000000008364: D2890052 00012103
	s_and_b32 s82, s82, 0xffffff                               // 00000000836C: 8652FF52 00FFFFFF
	s_cmp_lt_u32 s82, s66                                      // 000000008374: BF0A4252
	s_cselect_b32 s20, s36, s60                                // 000000008378: 85143C24
	v_readlane_b32 s82, v3, 17                                 // 00000000837C: D2890052 00012303
	s_and_b32 s82, s82, 0xffffff                               // 000000008384: 8652FF52 00FFFFFF
	s_cmp_lt_u32 s82, s66                                      // 00000000838C: BF0A4252
	s_cselect_b32 s21, s36, s60                                // 000000008390: 85153C24
	s_mov_b64 exec, s[20:21]                                   // 000000008394: BEFE0114
	global_atomic_add_f32 v6, v108, s[8:9]                     // 000000008398: DD348000 00086C06
	s_mov_b64 exec, s[36:37]                                   // 0000000083A0: BEFE0124
	v_mov_b32_e32 v6, v79                                      // 0000000083A4: 7E0C034F
	s_mov_b64 s[60:61], 0                                      // 0000000083A8: BEBC0180
	v_readlane_b32 s82, v3, 18                                 // 0000000083AC: D2890052 00012503
	s_and_b32 s82, s82, 0xffffff                               // 0000000083B4: 8652FF52 00FFFFFF
	s_cmp_lt_u32 s82, s66                                      // 0000000083BC: BF0A4252
	s_cselect_b32 s20, s36, s60                                // 0000000083C0: 85143C24
	v_readlane_b32 s82, v3, 19                                 // 0000000083C4: D2890052 00012703
	s_and_b32 s82, s82, 0xffffff                               // 0000000083CC: 8652FF52 00FFFFFF
	s_cmp_lt_u32 s82, s66                                      // 0000000083D4: BF0A4252
	s_cselect_b32 s21, s36, s60                                // 0000000083D8: 85153C24
	s_mov_b64 exec, s[20:21]                                   // 0000000083DC: BEFE0114
	global_atomic_add_f32 v6, v109, s[8:9]                     // 0000000083E0: DD348000 00086D06
	s_mov_b64 exec, s[36:37]                                   // 0000000083E8: BEFE0124
	v_mov_b32_e32 v6, v80                                      // 0000000083EC: 7E0C0350
	s_mov_b64 s[60:61], 0                                      // 0000000083F0: BEBC0180
	v_readlane_b32 s82, v3, 20                                 // 0000000083F4: D2890052 00012903
	s_and_b32 s82, s82, 0xffffff                               // 0000000083FC: 8652FF52 00FFFFFF
	s_cmp_lt_u32 s82, s66                                      // 000000008404: BF0A4252
	s_cselect_b32 s20, s36, s60                                // 000000008408: 85143C24
	v_readlane_b32 s82, v3, 21                                 // 00000000840C: D2890052 00012B03
	s_and_b32 s82, s82, 0xffffff                               // 000000008414: 8652FF52 00FFFFFF
	s_cmp_lt_u32 s82, s66                                      // 00000000841C: BF0A4252
	s_cselect_b32 s21, s36, s60                                // 000000008420: 85153C24
	s_mov_b64 exec, s[20:21]                                   // 000000008424: BEFE0114
	global_atomic_add_f32 v6, v112, s[8:9]                     // 000000008428: DD348000 00087006
	s_mov_b64 exec, s[36:37]                                   // 000000008430: BEFE0124
	v_mov_b32_e32 v6, v81                                      // 000000008434: 7E0C0351
	s_mov_b64 s[60:61], 0                                      // 000000008438: BEBC0180
	v_readlane_b32 s82, v3, 22                                 // 00000000843C: D2890052 00012D03
	s_and_b32 s82, s82, 0xffffff                               // 000000008444: 8652FF52 00FFFFFF
	s_cmp_lt_u32 s82, s66                                      // 00000000844C: BF0A4252
	s_cselect_b32 s20, s36, s60                                // 000000008450: 85143C24
	v_readlane_b32 s82, v3, 23                                 // 000000008454: D2890052 00012F03
	s_and_b32 s82, s82, 0xffffff                               // 00000000845C: 8652FF52 00FFFFFF
	s_cmp_lt_u32 s82, s66                                      // 000000008464: BF0A4252
	s_cselect_b32 s21, s36, s60                                // 000000008468: 85153C24
	s_mov_b64 exec, s[20:21]                                   // 00000000846C: BEFE0114
	global_atomic_add_f32 v6, v113, s[8:9]                     // 000000008470: DD348000 00087106
	s_mov_b64 exec, s[36:37]                                   // 000000008478: BEFE0124
	v_mov_b32_e32 v6, v82                                      // 00000000847C: 7E0C0352
	s_mov_b64 s[60:61], 0                                      // 000000008480: BEBC0180
	v_readlane_b32 s82, v3, 24                                 // 000000008484: D2890052 00013103
	s_and_b32 s82, s82, 0xffffff                               // 00000000848C: 8652FF52 00FFFFFF
	s_cmp_lt_u32 s82, s66                                      // 000000008494: BF0A4252
	s_cselect_b32 s20, s36, s60                                // 000000008498: 85143C24
	v_readlane_b32 s82, v3, 25                                 // 00000000849C: D2890052 00013303
	s_and_b32 s82, s82, 0xffffff                               // 0000000084A4: 8652FF52 00FFFFFF
	s_cmp_lt_u32 s82, s66                                      // 0000000084AC: BF0A4252
	s_cselect_b32 s21, s36, s60                                // 0000000084B0: 85153C24
	s_mov_b64 exec, s[20:21]                                   // 0000000084B4: BEFE0114
	global_atomic_add_f32 v6, v116, s[8:9]                     // 0000000084B8: DD348000 00087406
	s_mov_b64 exec, s[36:37]                                   // 0000000084C0: BEFE0124
	v_mov_b32_e32 v6, v83                                      // 0000000084C4: 7E0C0353
	s_mov_b64 s[60:61], 0                                      // 0000000084C8: BEBC0180
	v_readlane_b32 s82, v3, 26                                 // 0000000084CC: D2890052 00013503
	s_and_b32 s82, s82, 0xffffff                               // 0000000084D4: 8652FF52 00FFFFFF
	s_cmp_lt_u32 s82, s66                                      // 0000000084DC: BF0A4252
	s_cselect_b32 s20, s36, s60                                // 0000000084E0: 85143C24
	v_readlane_b32 s82, v3, 27                                 // 0000000084E4: D2890052 00013703
	s_and_b32 s82, s82, 0xffffff                               // 0000000084EC: 8652FF52 00FFFFFF
	s_cmp_lt_u32 s82, s66                                      // 0000000084F4: BF0A4252
	s_cselect_b32 s21, s36, s60                                // 0000000084F8: 85153C24
	s_mov_b64 exec, s[20:21]                                   // 0000000084FC: BEFE0114
	global_atomic_add_f32 v6, v117, s[8:9]                     // 000000008500: DD348000 00087506
	s_mov_b64 exec, s[36:37]                                   // 000000008508: BEFE0124
	v_mov_b32_e32 v6, v84                                      // 00000000850C: 7E0C0354
	s_mov_b64 s[60:61], 0                                      // 000000008510: BEBC0180
	v_readlane_b32 s82, v3, 28                                 // 000000008514: D2890052 00013903
	s_and_b32 s82, s82, 0xffffff                               // 00000000851C: 8652FF52 00FFFFFF
	s_cmp_lt_u32 s82, s66                                      // 000000008524: BF0A4252
	s_cselect_b32 s20, s36, s60                                // 000000008528: 85143C24
	v_readlane_b32 s82, v3, 29                                 // 00000000852C: D2890052 00013B03
	s_and_b32 s82, s82, 0xffffff                               // 000000008534: 8652FF52 00FFFFFF
	s_cmp_lt_u32 s82, s66                                      // 00000000853C: BF0A4252
	s_cselect_b32 s21, s36, s60                                // 000000008540: 85153C24
	s_mov_b64 exec, s[20:21]                                   // 000000008544: BEFE0114
	global_atomic_add_f32 v6, v120, s[8:9]                     // 000000008548: DD348000 00087806
	s_mov_b64 exec, s[36:37]                                   // 000000008550: BEFE0124
	v_mov_b32_e32 v6, v85                                      // 000000008554: 7E0C0355
	s_mov_b64 s[60:61], 0                                      // 000000008558: BEBC0180
	v_readlane_b32 s82, v3, 30                                 // 00000000855C: D2890052 00013D03
	s_and_b32 s82, s82, 0xffffff                               // 000000008564: 8652FF52 00FFFFFF
	s_cmp_lt_u32 s82, s66                                      // 00000000856C: BF0A4252
	s_cselect_b32 s20, s36, s60                                // 000000008570: 85143C24
	v_readlane_b32 s82, v3, 31                                 // 000000008574: D2890052 00013F03
	s_and_b32 s82, s82, 0xffffff                               // 00000000857C: 8652FF52 00FFFFFF
	s_cmp_lt_u32 s82, s66                                      // 000000008584: BF0A4252
	s_cselect_b32 s21, s36, s60                                // 000000008588: 85153C24
	s_mov_b64 exec, s[20:21]                                   // 00000000858C: BEFE0114
	global_atomic_add_f32 v6, v121, s[8:9]                     // 000000008590: DD348000 00087906
	s_mov_b64 exec, s[36:37]                                   // 000000008598: BEFE0124
	v_mov_b32_e32 v6, v86                                      // 00000000859C: 7E0C0356
	s_mov_b64 s[60:61], 0                                      // 0000000085A0: BEBC0180
	v_readlane_b32 s82, v3, 32                                 // 0000000085A4: D2890052 00014103
	s_and_b32 s82, s82, 0xffffff                               // 0000000085AC: 8652FF52 00FFFFFF
	s_cmp_lt_u32 s82, s66                                      // 0000000085B4: BF0A4252
	s_cselect_b32 s20, s36, s60                                // 0000000085B8: 85143C24
	v_readlane_b32 s82, v3, 33                                 // 0000000085BC: D2890052 00014303
	s_and_b32 s82, s82, 0xffffff                               // 0000000085C4: 8652FF52 00FFFFFF
	s_cmp_lt_u32 s82, s66                                      // 0000000085CC: BF0A4252
	s_cselect_b32 s21, s36, s60                                // 0000000085D0: 85153C24
	s_mov_b64 exec, s[20:21]                                   // 0000000085D4: BEFE0114
	global_atomic_add_f32 v6, v124, s[8:9]                     // 0000000085D8: DD348000 00087C06
	s_mov_b64 exec, s[36:37]                                   // 0000000085E0: BEFE0124
	v_mov_b32_e32 v6, v87                                      // 0000000085E4: 7E0C0357
	s_mov_b64 s[60:61], 0                                      // 0000000085E8: BEBC0180
	v_readlane_b32 s82, v3, 34                                 // 0000000085EC: D2890052 00014503
	s_and_b32 s82, s82, 0xffffff                               // 0000000085F4: 8652FF52 00FFFFFF
	s_cmp_lt_u32 s82, s66                                      // 0000000085FC: BF0A4252
	s_cselect_b32 s20, s36, s60                                // 000000008600: 85143C24
	v_readlane_b32 s82, v3, 35                                 // 000000008604: D2890052 00014703
	s_and_b32 s82, s82, 0xffffff                               // 00000000860C: 8652FF52 00FFFFFF
	s_cmp_lt_u32 s82, s66                                      // 000000008614: BF0A4252
	s_cselect_b32 s21, s36, s60                                // 000000008618: 85153C24
	s_mov_b64 exec, s[20:21]                                   // 00000000861C: BEFE0114
	global_atomic_add_f32 v6, v125, s[8:9]                     // 000000008620: DD348000 00087D06
	s_mov_b64 exec, s[36:37]                                   // 000000008628: BEFE0124
	v_mov_b32_e32 v6, v88                                      // 00000000862C: 7E0C0358
	s_mov_b64 s[60:61], 0                                      // 000000008630: BEBC0180
	v_readlane_b32 s82, v3, 36                                 // 000000008634: D2890052 00014903
	s_and_b32 s82, s82, 0xffffff                               // 00000000863C: 8652FF52 00FFFFFF
	s_cmp_lt_u32 s82, s66                                      // 000000008644: BF0A4252
	s_cselect_b32 s20, s36, s60                                // 000000008648: 85143C24
	v_readlane_b32 s82, v3, 37                                 // 00000000864C: D2890052 00014B03
	s_and_b32 s82, s82, 0xffffff                               // 000000008654: 8652FF52 00FFFFFF
	s_cmp_lt_u32 s82, s66                                      // 00000000865C: BF0A4252
	s_cselect_b32 s21, s36, s60                                // 000000008660: 85153C24
	s_mov_b64 exec, s[20:21]                                   // 000000008664: BEFE0114
	global_atomic_add_f32 v6, v128, s[8:9]                     // 000000008668: DD348000 00088006
	s_mov_b64 exec, s[36:37]                                   // 000000008670: BEFE0124
	v_mov_b32_e32 v6, v89                                      // 000000008674: 7E0C0359
	s_mov_b64 s[60:61], 0                                      // 000000008678: BEBC0180
	v_readlane_b32 s82, v3, 38                                 // 00000000867C: D2890052 00014D03
	s_and_b32 s82, s82, 0xffffff                               // 000000008684: 8652FF52 00FFFFFF
	s_cmp_lt_u32 s82, s66                                      // 00000000868C: BF0A4252
	s_cselect_b32 s20, s36, s60                                // 000000008690: 85143C24
	v_readlane_b32 s82, v3, 39                                 // 000000008694: D2890052 00014F03
	s_and_b32 s82, s82, 0xffffff                               // 00000000869C: 8652FF52 00FFFFFF
	s_cmp_lt_u32 s82, s66                                      // 0000000086A4: BF0A4252
	s_cselect_b32 s21, s36, s60                                // 0000000086A8: 85153C24
	s_mov_b64 exec, s[20:21]                                   // 0000000086AC: BEFE0114
	global_atomic_add_f32 v6, v129, s[8:9]                     // 0000000086B0: DD348000 00088106
	s_mov_b64 exec, s[36:37]                                   // 0000000086B8: BEFE0124
	ds_write_b64 v20, v[94:95]                                 // 0000000086BC: D89A0000 00005E14
	ds_write_b64 v20, v[98:99] offset:2176                     // 0000000086C4: D89A0880 00006214
	ds_write_b64 v20, v[102:103] offset:4352                   // 0000000086CC: D89A1100 00006614
	ds_write_b64 v20, v[106:107] offset:6528                   // 0000000086D4: D89A1980 00006A14
	ds_write_b64 v20, v[110:111] offset:8704                   // 0000000086DC: D89A2200 00006E14
	ds_write_b64 v20, v[114:115] offset:10880                  // 0000000086E4: D89A2A80 00007214
	ds_write_b64 v20, v[118:119] offset:13056                  // 0000000086EC: D89A3300 00007614
	ds_write_b64 v20, v[122:123] offset:15232                  // 0000000086F4: D89A3B80 00007A14
	ds_write_b64 v20, v[126:127] offset:17408                  // 0000000086FC: D89A4400 00007E14
	ds_write_b64 v20, v[130:131] offset:19584                  // 000000008704: D89A4C80 00008214
	s_waitcnt lgkmcnt(0)                                       // 00000000870C: BF8CC07F
	s_barrier                                                  // 000000008710: BF8A0000
	ds_read_b32 v94, v21                                       // 000000008714: D86C0000 5E000015
	ds_read_b32 v95, v21 offset:64                             // 00000000871C: D86C0040 5F000015
	ds_read_b32 v98, v21 offset:2176                           // 000000008724: D86C0880 62000015
	ds_read_b32 v99, v21 offset:2240                           // 00000000872C: D86C08C0 63000015
	ds_read_b32 v102, v21 offset:4352                          // 000000008734: D86C1100 66000015
	ds_read_b32 v103, v21 offset:4416                          // 00000000873C: D86C1140 67000015
	ds_read_b32 v106, v21 offset:6528                          // 000000008744: D86C1980 6A000015
	ds_read_b32 v107, v21 offset:6592                          // 00000000874C: D86C19C0 6B000015
	ds_read_b32 v110, v21 offset:8704                          // 000000008754: D86C2200 6E000015
	ds_read_b32 v111, v21 offset:8768                          // 00000000875C: D86C2240 6F000015
	ds_read_b32 v114, v21 offset:10880                         // 000000008764: D86C2A80 72000015
	ds_read_b32 v115, v21 offset:10944                         // 00000000876C: D86C2AC0 73000015
	ds_read_b32 v118, v21 offset:13056                         // 000000008774: D86C3300 76000015
	ds_read_b32 v119, v21 offset:13120                         // 00000000877C: D86C3340 77000015
	ds_read_b32 v122, v21 offset:15232                         // 000000008784: D86C3B80 7A000015
	ds_read_b32 v123, v21 offset:15296                         // 00000000878C: D86C3BC0 7B000015
	ds_read_b32 v126, v21 offset:17408                         // 000000008794: D86C4400 7E000015
	ds_read_b32 v127, v21 offset:17472                         // 00000000879C: D86C4440 7F000015
	ds_read_b32 v130, v21 offset:19584                         // 0000000087A4: D86C4C80 82000015
	ds_read_b32 v131, v21 offset:19648                         // 0000000087AC: D86C4CC0 83000015
	s_waitcnt lgkmcnt(0)                                       // 0000000087B4: BF8CC07F
	v_mov_b32_e32 v7, 0                                        // 0000000087B8: 7E0E0280
	s_mov_b64 exec, s[36:37]                                   // 0000000087BC: BEFE0124
	v_mov_b32_e32 v6, v70                                      // 0000000087C0: 7E0C0346
	s_mov_b64 s[60:61], 0                                      // 0000000087C4: BEBC0180
	v_readlane_b32 s82, v3, 0                                  // 0000000087C8: D2890052 00010103
	s_and_b32 s82, s82, 0xffffff                               // 0000000087D0: 8652FF52 00FFFFFF
	s_cmp_lt_u32 s82, s66                                      // 0000000087D8: BF0A4252
	s_cselect_b32 s20, s36, s60                                // 0000000087DC: 85143C24
	v_readlane_b32 s82, v3, 1                                  // 0000000087E0: D2890052 00010303
	s_and_b32 s82, s82, 0xffffff                               // 0000000087E8: 8652FF52 00FFFFFF
	s_cmp_lt_u32 s82, s66                                      // 0000000087F0: BF0A4252
	s_cselect_b32 s21, s36, s60                                // 0000000087F4: 85153C24
	s_mov_b64 exec, s[20:21]                                   // 0000000087F8: BEFE0114
	global_atomic_add_f32 v6, v94, s[8:9] offset:8             // 0000000087FC: DD348008 00085E06
	s_mov_b64 exec, s[36:37]                                   // 000000008804: BEFE0124
	v_mov_b32_e32 v6, v71                                      // 000000008808: 7E0C0347
	s_mov_b64 s[60:61], 0                                      // 00000000880C: BEBC0180
	v_readlane_b32 s82, v3, 2                                  // 000000008810: D2890052 00010503
	s_and_b32 s82, s82, 0xffffff                               // 000000008818: 8652FF52 00FFFFFF
	s_cmp_lt_u32 s82, s66                                      // 000000008820: BF0A4252
	s_cselect_b32 s20, s36, s60                                // 000000008824: 85143C24
	v_readlane_b32 s82, v3, 3                                  // 000000008828: D2890052 00010703
	s_and_b32 s82, s82, 0xffffff                               // 000000008830: 8652FF52 00FFFFFF
	s_cmp_lt_u32 s82, s66                                      // 000000008838: BF0A4252
	s_cselect_b32 s21, s36, s60                                // 00000000883C: 85153C24
	s_mov_b64 exec, s[20:21]                                   // 000000008840: BEFE0114
	global_atomic_add_f32 v6, v95, s[8:9] offset:8             // 000000008844: DD348008 00085F06
	s_mov_b64 exec, s[36:37]                                   // 00000000884C: BEFE0124
	v_mov_b32_e32 v6, v72                                      // 000000008850: 7E0C0348
	s_mov_b64 s[60:61], 0                                      // 000000008854: BEBC0180
	v_readlane_b32 s82, v3, 4                                  // 000000008858: D2890052 00010903
	s_and_b32 s82, s82, 0xffffff                               // 000000008860: 8652FF52 00FFFFFF
	s_cmp_lt_u32 s82, s66                                      // 000000008868: BF0A4252
	s_cselect_b32 s20, s36, s60                                // 00000000886C: 85143C24
	v_readlane_b32 s82, v3, 5                                  // 000000008870: D2890052 00010B03
	s_and_b32 s82, s82, 0xffffff                               // 000000008878: 8652FF52 00FFFFFF
	s_cmp_lt_u32 s82, s66                                      // 000000008880: BF0A4252
	s_cselect_b32 s21, s36, s60                                // 000000008884: 85153C24
	s_mov_b64 exec, s[20:21]                                   // 000000008888: BEFE0114
	global_atomic_add_f32 v6, v98, s[8:9] offset:8             // 00000000888C: DD348008 00086206
	s_mov_b64 exec, s[36:37]                                   // 000000008894: BEFE0124
	v_mov_b32_e32 v6, v73                                      // 000000008898: 7E0C0349
	s_mov_b64 s[60:61], 0                                      // 00000000889C: BEBC0180
	v_readlane_b32 s82, v3, 6                                  // 0000000088A0: D2890052 00010D03
	s_and_b32 s82, s82, 0xffffff                               // 0000000088A8: 8652FF52 00FFFFFF
	s_cmp_lt_u32 s82, s66                                      // 0000000088B0: BF0A4252
	s_cselect_b32 s20, s36, s60                                // 0000000088B4: 85143C24
	v_readlane_b32 s82, v3, 7                                  // 0000000088B8: D2890052 00010F03
	s_and_b32 s82, s82, 0xffffff                               // 0000000088C0: 8652FF52 00FFFFFF
	s_cmp_lt_u32 s82, s66                                      // 0000000088C8: BF0A4252
	s_cselect_b32 s21, s36, s60                                // 0000000088CC: 85153C24
	s_mov_b64 exec, s[20:21]                                   // 0000000088D0: BEFE0114
	global_atomic_add_f32 v6, v99, s[8:9] offset:8             // 0000000088D4: DD348008 00086306
	s_mov_b64 exec, s[36:37]                                   // 0000000088DC: BEFE0124
	v_mov_b32_e32 v6, v74                                      // 0000000088E0: 7E0C034A
	s_mov_b64 s[60:61], 0                                      // 0000000088E4: BEBC0180
	v_readlane_b32 s82, v3, 8                                  // 0000000088E8: D2890052 00011103
	s_and_b32 s82, s82, 0xffffff                               // 0000000088F0: 8652FF52 00FFFFFF
	s_cmp_lt_u32 s82, s66                                      // 0000000088F8: BF0A4252
	s_cselect_b32 s20, s36, s60                                // 0000000088FC: 85143C24
	v_readlane_b32 s82, v3, 9                                  // 000000008900: D2890052 00011303
	s_and_b32 s82, s82, 0xffffff                               // 000000008908: 8652FF52 00FFFFFF
	s_cmp_lt_u32 s82, s66                                      // 000000008910: BF0A4252
	s_cselect_b32 s21, s36, s60                                // 000000008914: 85153C24
	s_mov_b64 exec, s[20:21]                                   // 000000008918: BEFE0114
	global_atomic_add_f32 v6, v102, s[8:9] offset:8            // 00000000891C: DD348008 00086606
	s_mov_b64 exec, s[36:37]                                   // 000000008924: BEFE0124
	v_mov_b32_e32 v6, v75                                      // 000000008928: 7E0C034B
	s_mov_b64 s[60:61], 0                                      // 00000000892C: BEBC0180
	v_readlane_b32 s82, v3, 10                                 // 000000008930: D2890052 00011503
	s_and_b32 s82, s82, 0xffffff                               // 000000008938: 8652FF52 00FFFFFF
	s_cmp_lt_u32 s82, s66                                      // 000000008940: BF0A4252
	s_cselect_b32 s20, s36, s60                                // 000000008944: 85143C24
	v_readlane_b32 s82, v3, 11                                 // 000000008948: D2890052 00011703
	s_and_b32 s82, s82, 0xffffff                               // 000000008950: 8652FF52 00FFFFFF
	s_cmp_lt_u32 s82, s66                                      // 000000008958: BF0A4252
	s_cselect_b32 s21, s36, s60                                // 00000000895C: 85153C24
	s_mov_b64 exec, s[20:21]                                   // 000000008960: BEFE0114
	global_atomic_add_f32 v6, v103, s[8:9] offset:8            // 000000008964: DD348008 00086706
	s_mov_b64 exec, s[36:37]                                   // 00000000896C: BEFE0124
	v_mov_b32_e32 v6, v76                                      // 000000008970: 7E0C034C
	s_mov_b64 s[60:61], 0                                      // 000000008974: BEBC0180
	v_readlane_b32 s82, v3, 12                                 // 000000008978: D2890052 00011903
	s_and_b32 s82, s82, 0xffffff                               // 000000008980: 8652FF52 00FFFFFF
	s_cmp_lt_u32 s82, s66                                      // 000000008988: BF0A4252
	s_cselect_b32 s20, s36, s60                                // 00000000898C: 85143C24
	v_readlane_b32 s82, v3, 13                                 // 000000008990: D2890052 00011B03
	s_and_b32 s82, s82, 0xffffff                               // 000000008998: 8652FF52 00FFFFFF
	s_cmp_lt_u32 s82, s66                                      // 0000000089A0: BF0A4252
	s_cselect_b32 s21, s36, s60                                // 0000000089A4: 85153C24
	s_mov_b64 exec, s[20:21]                                   // 0000000089A8: BEFE0114
	global_atomic_add_f32 v6, v106, s[8:9] offset:8            // 0000000089AC: DD348008 00086A06
	s_mov_b64 exec, s[36:37]                                   // 0000000089B4: BEFE0124
	v_mov_b32_e32 v6, v77                                      // 0000000089B8: 7E0C034D
	s_mov_b64 s[60:61], 0                                      // 0000000089BC: BEBC0180
	v_readlane_b32 s82, v3, 14                                 // 0000000089C0: D2890052 00011D03
	s_and_b32 s82, s82, 0xffffff                               // 0000000089C8: 8652FF52 00FFFFFF
	s_cmp_lt_u32 s82, s66                                      // 0000000089D0: BF0A4252
	s_cselect_b32 s20, s36, s60                                // 0000000089D4: 85143C24
	v_readlane_b32 s82, v3, 15                                 // 0000000089D8: D2890052 00011F03
	s_and_b32 s82, s82, 0xffffff                               // 0000000089E0: 8652FF52 00FFFFFF
	s_cmp_lt_u32 s82, s66                                      // 0000000089E8: BF0A4252
	s_cselect_b32 s21, s36, s60                                // 0000000089EC: 85153C24
	s_mov_b64 exec, s[20:21]                                   // 0000000089F0: BEFE0114
	global_atomic_add_f32 v6, v107, s[8:9] offset:8            // 0000000089F4: DD348008 00086B06
	s_mov_b64 exec, s[36:37]                                   // 0000000089FC: BEFE0124
	v_mov_b32_e32 v6, v78                                      // 000000008A00: 7E0C034E
	s_mov_b64 s[60:61], 0                                      // 000000008A04: BEBC0180
	v_readlane_b32 s82, v3, 16                                 // 000000008A08: D2890052 00012103
	s_and_b32 s82, s82, 0xffffff                               // 000000008A10: 8652FF52 00FFFFFF
	s_cmp_lt_u32 s82, s66                                      // 000000008A18: BF0A4252
	s_cselect_b32 s20, s36, s60                                // 000000008A1C: 85143C24
	v_readlane_b32 s82, v3, 17                                 // 000000008A20: D2890052 00012303
	s_and_b32 s82, s82, 0xffffff                               // 000000008A28: 8652FF52 00FFFFFF
	s_cmp_lt_u32 s82, s66                                      // 000000008A30: BF0A4252
	s_cselect_b32 s21, s36, s60                                // 000000008A34: 85153C24
	s_mov_b64 exec, s[20:21]                                   // 000000008A38: BEFE0114
	global_atomic_add_f32 v6, v110, s[8:9] offset:8            // 000000008A3C: DD348008 00086E06
	s_mov_b64 exec, s[36:37]                                   // 000000008A44: BEFE0124
	v_mov_b32_e32 v6, v79                                      // 000000008A48: 7E0C034F
	s_mov_b64 s[60:61], 0                                      // 000000008A4C: BEBC0180
	v_readlane_b32 s82, v3, 18                                 // 000000008A50: D2890052 00012503
	s_and_b32 s82, s82, 0xffffff                               // 000000008A58: 8652FF52 00FFFFFF
	s_cmp_lt_u32 s82, s66                                      // 000000008A60: BF0A4252
	s_cselect_b32 s20, s36, s60                                // 000000008A64: 85143C24
	v_readlane_b32 s82, v3, 19                                 // 000000008A68: D2890052 00012703
	s_and_b32 s82, s82, 0xffffff                               // 000000008A70: 8652FF52 00FFFFFF
	s_cmp_lt_u32 s82, s66                                      // 000000008A78: BF0A4252
	s_cselect_b32 s21, s36, s60                                // 000000008A7C: 85153C24
	s_mov_b64 exec, s[20:21]                                   // 000000008A80: BEFE0114
	global_atomic_add_f32 v6, v111, s[8:9] offset:8            // 000000008A84: DD348008 00086F06
	s_mov_b64 exec, s[36:37]                                   // 000000008A8C: BEFE0124
	v_mov_b32_e32 v6, v80                                      // 000000008A90: 7E0C0350
	s_mov_b64 s[60:61], 0                                      // 000000008A94: BEBC0180
	v_readlane_b32 s82, v3, 20                                 // 000000008A98: D2890052 00012903
	s_and_b32 s82, s82, 0xffffff                               // 000000008AA0: 8652FF52 00FFFFFF
	s_cmp_lt_u32 s82, s66                                      // 000000008AA8: BF0A4252
	s_cselect_b32 s20, s36, s60                                // 000000008AAC: 85143C24
	v_readlane_b32 s82, v3, 21                                 // 000000008AB0: D2890052 00012B03
	s_and_b32 s82, s82, 0xffffff                               // 000000008AB8: 8652FF52 00FFFFFF
	s_cmp_lt_u32 s82, s66                                      // 000000008AC0: BF0A4252
	s_cselect_b32 s21, s36, s60                                // 000000008AC4: 85153C24
	s_mov_b64 exec, s[20:21]                                   // 000000008AC8: BEFE0114
	global_atomic_add_f32 v6, v114, s[8:9] offset:8            // 000000008ACC: DD348008 00087206
	s_mov_b64 exec, s[36:37]                                   // 000000008AD4: BEFE0124
	v_mov_b32_e32 v6, v81                                      // 000000008AD8: 7E0C0351
	s_mov_b64 s[60:61], 0                                      // 000000008ADC: BEBC0180
	v_readlane_b32 s82, v3, 22                                 // 000000008AE0: D2890052 00012D03
	s_and_b32 s82, s82, 0xffffff                               // 000000008AE8: 8652FF52 00FFFFFF
	s_cmp_lt_u32 s82, s66                                      // 000000008AF0: BF0A4252
	s_cselect_b32 s20, s36, s60                                // 000000008AF4: 85143C24
	v_readlane_b32 s82, v3, 23                                 // 000000008AF8: D2890052 00012F03
	s_and_b32 s82, s82, 0xffffff                               // 000000008B00: 8652FF52 00FFFFFF
	s_cmp_lt_u32 s82, s66                                      // 000000008B08: BF0A4252
	s_cselect_b32 s21, s36, s60                                // 000000008B0C: 85153C24
	s_mov_b64 exec, s[20:21]                                   // 000000008B10: BEFE0114
	global_atomic_add_f32 v6, v115, s[8:9] offset:8            // 000000008B14: DD348008 00087306
	s_mov_b64 exec, s[36:37]                                   // 000000008B1C: BEFE0124
	v_mov_b32_e32 v6, v82                                      // 000000008B20: 7E0C0352
	s_mov_b64 s[60:61], 0                                      // 000000008B24: BEBC0180
	v_readlane_b32 s82, v3, 24                                 // 000000008B28: D2890052 00013103
	s_and_b32 s82, s82, 0xffffff                               // 000000008B30: 8652FF52 00FFFFFF
	s_cmp_lt_u32 s82, s66                                      // 000000008B38: BF0A4252
	s_cselect_b32 s20, s36, s60                                // 000000008B3C: 85143C24
	v_readlane_b32 s82, v3, 25                                 // 000000008B40: D2890052 00013303
	s_and_b32 s82, s82, 0xffffff                               // 000000008B48: 8652FF52 00FFFFFF
	s_cmp_lt_u32 s82, s66                                      // 000000008B50: BF0A4252
	s_cselect_b32 s21, s36, s60                                // 000000008B54: 85153C24
	s_mov_b64 exec, s[20:21]                                   // 000000008B58: BEFE0114
	global_atomic_add_f32 v6, v118, s[8:9] offset:8            // 000000008B5C: DD348008 00087606
	s_mov_b64 exec, s[36:37]                                   // 000000008B64: BEFE0124
	v_mov_b32_e32 v6, v83                                      // 000000008B68: 7E0C0353
	s_mov_b64 s[60:61], 0                                      // 000000008B6C: BEBC0180
	v_readlane_b32 s82, v3, 26                                 // 000000008B70: D2890052 00013503
	s_and_b32 s82, s82, 0xffffff                               // 000000008B78: 8652FF52 00FFFFFF
	s_cmp_lt_u32 s82, s66                                      // 000000008B80: BF0A4252
	s_cselect_b32 s20, s36, s60                                // 000000008B84: 85143C24
	v_readlane_b32 s82, v3, 27                                 // 000000008B88: D2890052 00013703
	s_and_b32 s82, s82, 0xffffff                               // 000000008B90: 8652FF52 00FFFFFF
	s_cmp_lt_u32 s82, s66                                      // 000000008B98: BF0A4252
	s_cselect_b32 s21, s36, s60                                // 000000008B9C: 85153C24
	s_mov_b64 exec, s[20:21]                                   // 000000008BA0: BEFE0114
	global_atomic_add_f32 v6, v119, s[8:9] offset:8            // 000000008BA4: DD348008 00087706
	s_mov_b64 exec, s[36:37]                                   // 000000008BAC: BEFE0124
	v_mov_b32_e32 v6, v84                                      // 000000008BB0: 7E0C0354
	s_mov_b64 s[60:61], 0                                      // 000000008BB4: BEBC0180
	v_readlane_b32 s82, v3, 28                                 // 000000008BB8: D2890052 00013903
	s_and_b32 s82, s82, 0xffffff                               // 000000008BC0: 8652FF52 00FFFFFF
	s_cmp_lt_u32 s82, s66                                      // 000000008BC8: BF0A4252
	s_cselect_b32 s20, s36, s60                                // 000000008BCC: 85143C24
	v_readlane_b32 s82, v3, 29                                 // 000000008BD0: D2890052 00013B03
	s_and_b32 s82, s82, 0xffffff                               // 000000008BD8: 8652FF52 00FFFFFF
	s_cmp_lt_u32 s82, s66                                      // 000000008BE0: BF0A4252
	s_cselect_b32 s21, s36, s60                                // 000000008BE4: 85153C24
	s_mov_b64 exec, s[20:21]                                   // 000000008BE8: BEFE0114
	global_atomic_add_f32 v6, v122, s[8:9] offset:8            // 000000008BEC: DD348008 00087A06
	s_mov_b64 exec, s[36:37]                                   // 000000008BF4: BEFE0124
	v_mov_b32_e32 v6, v85                                      // 000000008BF8: 7E0C0355
	s_mov_b64 s[60:61], 0                                      // 000000008BFC: BEBC0180
	v_readlane_b32 s82, v3, 30                                 // 000000008C00: D2890052 00013D03
	s_and_b32 s82, s82, 0xffffff                               // 000000008C08: 8652FF52 00FFFFFF
	s_cmp_lt_u32 s82, s66                                      // 000000008C10: BF0A4252
	s_cselect_b32 s20, s36, s60                                // 000000008C14: 85143C24
	v_readlane_b32 s82, v3, 31                                 // 000000008C18: D2890052 00013F03
	s_and_b32 s82, s82, 0xffffff                               // 000000008C20: 8652FF52 00FFFFFF
	s_cmp_lt_u32 s82, s66                                      // 000000008C28: BF0A4252
	s_cselect_b32 s21, s36, s60                                // 000000008C2C: 85153C24
	s_mov_b64 exec, s[20:21]                                   // 000000008C30: BEFE0114
	global_atomic_add_f32 v6, v123, s[8:9] offset:8            // 000000008C34: DD348008 00087B06
	s_mov_b64 exec, s[36:37]                                   // 000000008C3C: BEFE0124
	v_mov_b32_e32 v6, v86                                      // 000000008C40: 7E0C0356
	s_mov_b64 s[60:61], 0                                      // 000000008C44: BEBC0180
	v_readlane_b32 s82, v3, 32                                 // 000000008C48: D2890052 00014103
	s_and_b32 s82, s82, 0xffffff                               // 000000008C50: 8652FF52 00FFFFFF
	s_cmp_lt_u32 s82, s66                                      // 000000008C58: BF0A4252
	s_cselect_b32 s20, s36, s60                                // 000000008C5C: 85143C24
	v_readlane_b32 s82, v3, 33                                 // 000000008C60: D2890052 00014303
	s_and_b32 s82, s82, 0xffffff                               // 000000008C68: 8652FF52 00FFFFFF
	s_cmp_lt_u32 s82, s66                                      // 000000008C70: BF0A4252
	s_cselect_b32 s21, s36, s60                                // 000000008C74: 85153C24
	s_mov_b64 exec, s[20:21]                                   // 000000008C78: BEFE0114
	global_atomic_add_f32 v6, v126, s[8:9] offset:8            // 000000008C7C: DD348008 00087E06
	s_mov_b64 exec, s[36:37]                                   // 000000008C84: BEFE0124
	v_mov_b32_e32 v6, v87                                      // 000000008C88: 7E0C0357
	s_mov_b64 s[60:61], 0                                      // 000000008C8C: BEBC0180
	v_readlane_b32 s82, v3, 34                                 // 000000008C90: D2890052 00014503
	s_and_b32 s82, s82, 0xffffff                               // 000000008C98: 8652FF52 00FFFFFF
	s_cmp_lt_u32 s82, s66                                      // 000000008CA0: BF0A4252
	s_cselect_b32 s20, s36, s60                                // 000000008CA4: 85143C24
	v_readlane_b32 s82, v3, 35                                 // 000000008CA8: D2890052 00014703
	s_and_b32 s82, s82, 0xffffff                               // 000000008CB0: 8652FF52 00FFFFFF
	s_cmp_lt_u32 s82, s66                                      // 000000008CB8: BF0A4252
	s_cselect_b32 s21, s36, s60                                // 000000008CBC: 85153C24
	s_mov_b64 exec, s[20:21]                                   // 000000008CC0: BEFE0114
	global_atomic_add_f32 v6, v127, s[8:9] offset:8            // 000000008CC4: DD348008 00087F06
	s_mov_b64 exec, s[36:37]                                   // 000000008CCC: BEFE0124
	v_mov_b32_e32 v6, v88                                      // 000000008CD0: 7E0C0358
	s_mov_b64 s[60:61], 0                                      // 000000008CD4: BEBC0180
	v_readlane_b32 s82, v3, 36                                 // 000000008CD8: D2890052 00014903
	s_and_b32 s82, s82, 0xffffff                               // 000000008CE0: 8652FF52 00FFFFFF
	s_cmp_lt_u32 s82, s66                                      // 000000008CE8: BF0A4252
	s_cselect_b32 s20, s36, s60                                // 000000008CEC: 85143C24
	v_readlane_b32 s82, v3, 37                                 // 000000008CF0: D2890052 00014B03
	s_and_b32 s82, s82, 0xffffff                               // 000000008CF8: 8652FF52 00FFFFFF
	s_cmp_lt_u32 s82, s66                                      // 000000008D00: BF0A4252
	s_cselect_b32 s21, s36, s60                                // 000000008D04: 85153C24
	s_mov_b64 exec, s[20:21]                                   // 000000008D08: BEFE0114
	global_atomic_add_f32 v6, v130, s[8:9] offset:8            // 000000008D0C: DD348008 00088206
	s_mov_b64 exec, s[36:37]                                   // 000000008D14: BEFE0124
	v_mov_b32_e32 v6, v89                                      // 000000008D18: 7E0C0359
	s_mov_b64 s[60:61], 0                                      // 000000008D1C: BEBC0180
	v_readlane_b32 s82, v3, 38                                 // 000000008D20: D2890052 00014D03
	s_and_b32 s82, s82, 0xffffff                               // 000000008D28: 8652FF52 00FFFFFF
	s_cmp_lt_u32 s82, s66                                      // 000000008D30: BF0A4252
	s_cselect_b32 s20, s36, s60                                // 000000008D34: 85143C24
	v_readlane_b32 s82, v3, 39                                 // 000000008D38: D2890052 00014F03
	s_and_b32 s82, s82, 0xffffff                               // 000000008D40: 8652FF52 00FFFFFF
	s_cmp_lt_u32 s82, s66                                      // 000000008D48: BF0A4252
	s_cselect_b32 s21, s36, s60                                // 000000008D4C: 85153C24
	s_mov_b64 exec, s[20:21]                                   // 000000008D50: BEFE0114
	global_atomic_add_f32 v6, v131, s[8:9] offset:8            // 000000008D54: DD348008 00088306
	s_mov_b64 exec, s[36:37]                                   // 000000008D5C: BEFE0124
	ds_write_b64 v20, v[132:133]                               // 000000008D60: D89A0000 00008414
	ds_write_b64 v20, v[136:137] offset:2176                   // 000000008D68: D89A0880 00008814
	ds_write_b64 v20, v[140:141] offset:4352                   // 000000008D70: D89A1100 00008C14
	ds_write_b64 v20, v[144:145] offset:6528                   // 000000008D78: D89A1980 00009014
	ds_write_b64 v20, v[148:149] offset:8704                   // 000000008D80: D89A2200 00009414
	ds_write_b64 v20, v[152:153] offset:10880                  // 000000008D88: D89A2A80 00009814
	ds_write_b64 v20, v[156:157] offset:13056                  // 000000008D90: D89A3300 00009C14
	ds_write_b64 v20, v[160:161] offset:15232                  // 000000008D98: D89A3B80 0000A014
	ds_write_b64 v20, v[164:165] offset:17408                  // 000000008DA0: D89A4400 0000A414
	ds_write_b64 v20, v[168:169] offset:19584                  // 000000008DA8: D89A4C80 0000A814
	s_waitcnt lgkmcnt(0)                                       // 000000008DB0: BF8CC07F
	s_barrier                                                  // 000000008DB4: BF8A0000
	ds_read_b32 v132, v21                                      // 000000008DB8: D86C0000 84000015
	ds_read_b32 v133, v21 offset:64                            // 000000008DC0: D86C0040 85000015
	ds_read_b32 v136, v21 offset:2176                          // 000000008DC8: D86C0880 88000015
	ds_read_b32 v137, v21 offset:2240                          // 000000008DD0: D86C08C0 89000015
	ds_read_b32 v140, v21 offset:4352                          // 000000008DD8: D86C1100 8C000015
	ds_read_b32 v141, v21 offset:4416                          // 000000008DE0: D86C1140 8D000015
	ds_read_b32 v144, v21 offset:6528                          // 000000008DE8: D86C1980 90000015
	ds_read_b32 v145, v21 offset:6592                          // 000000008DF0: D86C19C0 91000015
	ds_read_b32 v148, v21 offset:8704                          // 000000008DF8: D86C2200 94000015
	ds_read_b32 v149, v21 offset:8768                          // 000000008E00: D86C2240 95000015
	ds_read_b32 v152, v21 offset:10880                         // 000000008E08: D86C2A80 98000015
	ds_read_b32 v153, v21 offset:10944                         // 000000008E10: D86C2AC0 99000015
	ds_read_b32 v156, v21 offset:13056                         // 000000008E18: D86C3300 9C000015
	ds_read_b32 v157, v21 offset:13120                         // 000000008E20: D86C3340 9D000015
	ds_read_b32 v160, v21 offset:15232                         // 000000008E28: D86C3B80 A0000015
	ds_read_b32 v161, v21 offset:15296                         // 000000008E30: D86C3BC0 A1000015
	ds_read_b32 v164, v21 offset:17408                         // 000000008E38: D86C4400 A4000015
	ds_read_b32 v165, v21 offset:17472                         // 000000008E40: D86C4440 A5000015
	ds_read_b32 v168, v21 offset:19584                         // 000000008E48: D86C4C80 A8000015
	ds_read_b32 v169, v21 offset:19648                         // 000000008E50: D86C4CC0 A9000015
	s_mul_i32 s60, s65, 4                                      // 000000008E58: 923C8441
	s_add_u32 s8, s60, s8                                      // 000000008E5C: 8008083C
	s_addc_u32 s9, 0, s9                                       // 000000008E60: 82090980
	s_waitcnt lgkmcnt(0)                                       // 000000008E64: BF8CC07F
	v_mov_b32_e32 v7, 0                                        // 000000008E68: 7E0E0280
	s_mov_b64 exec, s[36:37]                                   // 000000008E6C: BEFE0124
	v_mov_b32_e32 v6, v70                                      // 000000008E70: 7E0C0346
	s_mov_b64 s[60:61], 0                                      // 000000008E74: BEBC0180
	v_readlane_b32 s82, v3, 0                                  // 000000008E78: D2890052 00010103
	s_and_b32 s82, s82, 0xffffff                               // 000000008E80: 8652FF52 00FFFFFF
	s_cmp_lt_u32 s82, s66                                      // 000000008E88: BF0A4252
	s_cselect_b32 s20, s36, s60                                // 000000008E8C: 85143C24
	v_readlane_b32 s82, v3, 1                                  // 000000008E90: D2890052 00010303
	s_and_b32 s82, s82, 0xffffff                               // 000000008E98: 8652FF52 00FFFFFF
	s_cmp_lt_u32 s82, s66                                      // 000000008EA0: BF0A4252
	s_cselect_b32 s21, s36, s60                                // 000000008EA4: 85153C24
	s_mov_b64 exec, s[20:21]                                   // 000000008EA8: BEFE0114
	global_atomic_add_f32 v6, v132, s[8:9]                     // 000000008EAC: DD348000 00088406
	s_mov_b64 exec, s[36:37]                                   // 000000008EB4: BEFE0124
	v_mov_b32_e32 v6, v71                                      // 000000008EB8: 7E0C0347
	s_mov_b64 s[60:61], 0                                      // 000000008EBC: BEBC0180
	v_readlane_b32 s82, v3, 2                                  // 000000008EC0: D2890052 00010503
	s_and_b32 s82, s82, 0xffffff                               // 000000008EC8: 8652FF52 00FFFFFF
	s_cmp_lt_u32 s82, s66                                      // 000000008ED0: BF0A4252
	s_cselect_b32 s20, s36, s60                                // 000000008ED4: 85143C24
	v_readlane_b32 s82, v3, 3                                  // 000000008ED8: D2890052 00010703
	s_and_b32 s82, s82, 0xffffff                               // 000000008EE0: 8652FF52 00FFFFFF
	s_cmp_lt_u32 s82, s66                                      // 000000008EE8: BF0A4252
	s_cselect_b32 s21, s36, s60                                // 000000008EEC: 85153C24
	s_mov_b64 exec, s[20:21]                                   // 000000008EF0: BEFE0114
	global_atomic_add_f32 v6, v133, s[8:9]                     // 000000008EF4: DD348000 00088506
	s_mov_b64 exec, s[36:37]                                   // 000000008EFC: BEFE0124
	v_mov_b32_e32 v6, v72                                      // 000000008F00: 7E0C0348
	s_mov_b64 s[60:61], 0                                      // 000000008F04: BEBC0180
	v_readlane_b32 s82, v3, 4                                  // 000000008F08: D2890052 00010903
	s_and_b32 s82, s82, 0xffffff                               // 000000008F10: 8652FF52 00FFFFFF
	s_cmp_lt_u32 s82, s66                                      // 000000008F18: BF0A4252
	s_cselect_b32 s20, s36, s60                                // 000000008F1C: 85143C24
	v_readlane_b32 s82, v3, 5                                  // 000000008F20: D2890052 00010B03
	s_and_b32 s82, s82, 0xffffff                               // 000000008F28: 8652FF52 00FFFFFF
	s_cmp_lt_u32 s82, s66                                      // 000000008F30: BF0A4252
	s_cselect_b32 s21, s36, s60                                // 000000008F34: 85153C24
	s_mov_b64 exec, s[20:21]                                   // 000000008F38: BEFE0114
	global_atomic_add_f32 v6, v136, s[8:9]                     // 000000008F3C: DD348000 00088806
	s_mov_b64 exec, s[36:37]                                   // 000000008F44: BEFE0124
	v_mov_b32_e32 v6, v73                                      // 000000008F48: 7E0C0349
	s_mov_b64 s[60:61], 0                                      // 000000008F4C: BEBC0180
	v_readlane_b32 s82, v3, 6                                  // 000000008F50: D2890052 00010D03
	s_and_b32 s82, s82, 0xffffff                               // 000000008F58: 8652FF52 00FFFFFF
	s_cmp_lt_u32 s82, s66                                      // 000000008F60: BF0A4252
	s_cselect_b32 s20, s36, s60                                // 000000008F64: 85143C24
	v_readlane_b32 s82, v3, 7                                  // 000000008F68: D2890052 00010F03
	s_and_b32 s82, s82, 0xffffff                               // 000000008F70: 8652FF52 00FFFFFF
	s_cmp_lt_u32 s82, s66                                      // 000000008F78: BF0A4252
	s_cselect_b32 s21, s36, s60                                // 000000008F7C: 85153C24
	s_mov_b64 exec, s[20:21]                                   // 000000008F80: BEFE0114
	global_atomic_add_f32 v6, v137, s[8:9]                     // 000000008F84: DD348000 00088906
	s_mov_b64 exec, s[36:37]                                   // 000000008F8C: BEFE0124
	v_mov_b32_e32 v6, v74                                      // 000000008F90: 7E0C034A
	s_mov_b64 s[60:61], 0                                      // 000000008F94: BEBC0180
	v_readlane_b32 s82, v3, 8                                  // 000000008F98: D2890052 00011103
	s_and_b32 s82, s82, 0xffffff                               // 000000008FA0: 8652FF52 00FFFFFF
	s_cmp_lt_u32 s82, s66                                      // 000000008FA8: BF0A4252
	s_cselect_b32 s20, s36, s60                                // 000000008FAC: 85143C24
	v_readlane_b32 s82, v3, 9                                  // 000000008FB0: D2890052 00011303
	s_and_b32 s82, s82, 0xffffff                               // 000000008FB8: 8652FF52 00FFFFFF
	s_cmp_lt_u32 s82, s66                                      // 000000008FC0: BF0A4252
	s_cselect_b32 s21, s36, s60                                // 000000008FC4: 85153C24
	s_mov_b64 exec, s[20:21]                                   // 000000008FC8: BEFE0114
	global_atomic_add_f32 v6, v140, s[8:9]                     // 000000008FCC: DD348000 00088C06
	s_mov_b64 exec, s[36:37]                                   // 000000008FD4: BEFE0124
	v_mov_b32_e32 v6, v75                                      // 000000008FD8: 7E0C034B
	s_mov_b64 s[60:61], 0                                      // 000000008FDC: BEBC0180
	v_readlane_b32 s82, v3, 10                                 // 000000008FE0: D2890052 00011503
	s_and_b32 s82, s82, 0xffffff                               // 000000008FE8: 8652FF52 00FFFFFF
	s_cmp_lt_u32 s82, s66                                      // 000000008FF0: BF0A4252
	s_cselect_b32 s20, s36, s60                                // 000000008FF4: 85143C24
	v_readlane_b32 s82, v3, 11                                 // 000000008FF8: D2890052 00011703
	s_and_b32 s82, s82, 0xffffff                               // 000000009000: 8652FF52 00FFFFFF
	s_cmp_lt_u32 s82, s66                                      // 000000009008: BF0A4252
	s_cselect_b32 s21, s36, s60                                // 00000000900C: 85153C24
	s_mov_b64 exec, s[20:21]                                   // 000000009010: BEFE0114
	global_atomic_add_f32 v6, v141, s[8:9]                     // 000000009014: DD348000 00088D06
	s_mov_b64 exec, s[36:37]                                   // 00000000901C: BEFE0124
	v_mov_b32_e32 v6, v76                                      // 000000009020: 7E0C034C
	s_mov_b64 s[60:61], 0                                      // 000000009024: BEBC0180
	v_readlane_b32 s82, v3, 12                                 // 000000009028: D2890052 00011903
	s_and_b32 s82, s82, 0xffffff                               // 000000009030: 8652FF52 00FFFFFF
	s_cmp_lt_u32 s82, s66                                      // 000000009038: BF0A4252
	s_cselect_b32 s20, s36, s60                                // 00000000903C: 85143C24
	v_readlane_b32 s82, v3, 13                                 // 000000009040: D2890052 00011B03
	s_and_b32 s82, s82, 0xffffff                               // 000000009048: 8652FF52 00FFFFFF
	s_cmp_lt_u32 s82, s66                                      // 000000009050: BF0A4252
	s_cselect_b32 s21, s36, s60                                // 000000009054: 85153C24
	s_mov_b64 exec, s[20:21]                                   // 000000009058: BEFE0114
	global_atomic_add_f32 v6, v144, s[8:9]                     // 00000000905C: DD348000 00089006
	s_mov_b64 exec, s[36:37]                                   // 000000009064: BEFE0124
	v_mov_b32_e32 v6, v77                                      // 000000009068: 7E0C034D
	s_mov_b64 s[60:61], 0                                      // 00000000906C: BEBC0180
	v_readlane_b32 s82, v3, 14                                 // 000000009070: D2890052 00011D03
	s_and_b32 s82, s82, 0xffffff                               // 000000009078: 8652FF52 00FFFFFF
	s_cmp_lt_u32 s82, s66                                      // 000000009080: BF0A4252
	s_cselect_b32 s20, s36, s60                                // 000000009084: 85143C24
	v_readlane_b32 s82, v3, 15                                 // 000000009088: D2890052 00011F03
	s_and_b32 s82, s82, 0xffffff                               // 000000009090: 8652FF52 00FFFFFF
	s_cmp_lt_u32 s82, s66                                      // 000000009098: BF0A4252
	s_cselect_b32 s21, s36, s60                                // 00000000909C: 85153C24
	s_mov_b64 exec, s[20:21]                                   // 0000000090A0: BEFE0114
	global_atomic_add_f32 v6, v145, s[8:9]                     // 0000000090A4: DD348000 00089106
	s_mov_b64 exec, s[36:37]                                   // 0000000090AC: BEFE0124
	v_mov_b32_e32 v6, v78                                      // 0000000090B0: 7E0C034E
	s_mov_b64 s[60:61], 0                                      // 0000000090B4: BEBC0180
	v_readlane_b32 s82, v3, 16                                 // 0000000090B8: D2890052 00012103
	s_and_b32 s82, s82, 0xffffff                               // 0000000090C0: 8652FF52 00FFFFFF
	s_cmp_lt_u32 s82, s66                                      // 0000000090C8: BF0A4252
	s_cselect_b32 s20, s36, s60                                // 0000000090CC: 85143C24
	v_readlane_b32 s82, v3, 17                                 // 0000000090D0: D2890052 00012303
	s_and_b32 s82, s82, 0xffffff                               // 0000000090D8: 8652FF52 00FFFFFF
	s_cmp_lt_u32 s82, s66                                      // 0000000090E0: BF0A4252
	s_cselect_b32 s21, s36, s60                                // 0000000090E4: 85153C24
	s_mov_b64 exec, s[20:21]                                   // 0000000090E8: BEFE0114
	global_atomic_add_f32 v6, v148, s[8:9]                     // 0000000090EC: DD348000 00089406
	s_mov_b64 exec, s[36:37]                                   // 0000000090F4: BEFE0124
	v_mov_b32_e32 v6, v79                                      // 0000000090F8: 7E0C034F
	s_mov_b64 s[60:61], 0                                      // 0000000090FC: BEBC0180
	v_readlane_b32 s82, v3, 18                                 // 000000009100: D2890052 00012503
	s_and_b32 s82, s82, 0xffffff                               // 000000009108: 8652FF52 00FFFFFF
	s_cmp_lt_u32 s82, s66                                      // 000000009110: BF0A4252
	s_cselect_b32 s20, s36, s60                                // 000000009114: 85143C24
	v_readlane_b32 s82, v3, 19                                 // 000000009118: D2890052 00012703
	s_and_b32 s82, s82, 0xffffff                               // 000000009120: 8652FF52 00FFFFFF
	s_cmp_lt_u32 s82, s66                                      // 000000009128: BF0A4252
	s_cselect_b32 s21, s36, s60                                // 00000000912C: 85153C24
	s_mov_b64 exec, s[20:21]                                   // 000000009130: BEFE0114
	global_atomic_add_f32 v6, v149, s[8:9]                     // 000000009134: DD348000 00089506
	s_mov_b64 exec, s[36:37]                                   // 00000000913C: BEFE0124
	v_mov_b32_e32 v6, v80                                      // 000000009140: 7E0C0350
	s_mov_b64 s[60:61], 0                                      // 000000009144: BEBC0180
	v_readlane_b32 s82, v3, 20                                 // 000000009148: D2890052 00012903
	s_and_b32 s82, s82, 0xffffff                               // 000000009150: 8652FF52 00FFFFFF
	s_cmp_lt_u32 s82, s66                                      // 000000009158: BF0A4252
	s_cselect_b32 s20, s36, s60                                // 00000000915C: 85143C24
	v_readlane_b32 s82, v3, 21                                 // 000000009160: D2890052 00012B03
	s_and_b32 s82, s82, 0xffffff                               // 000000009168: 8652FF52 00FFFFFF
	s_cmp_lt_u32 s82, s66                                      // 000000009170: BF0A4252
	s_cselect_b32 s21, s36, s60                                // 000000009174: 85153C24
	s_mov_b64 exec, s[20:21]                                   // 000000009178: BEFE0114
	global_atomic_add_f32 v6, v152, s[8:9]                     // 00000000917C: DD348000 00089806
	s_mov_b64 exec, s[36:37]                                   // 000000009184: BEFE0124
	v_mov_b32_e32 v6, v81                                      // 000000009188: 7E0C0351
	s_mov_b64 s[60:61], 0                                      // 00000000918C: BEBC0180
	v_readlane_b32 s82, v3, 22                                 // 000000009190: D2890052 00012D03
	s_and_b32 s82, s82, 0xffffff                               // 000000009198: 8652FF52 00FFFFFF
	s_cmp_lt_u32 s82, s66                                      // 0000000091A0: BF0A4252
	s_cselect_b32 s20, s36, s60                                // 0000000091A4: 85143C24
	v_readlane_b32 s82, v3, 23                                 // 0000000091A8: D2890052 00012F03
	s_and_b32 s82, s82, 0xffffff                               // 0000000091B0: 8652FF52 00FFFFFF
	s_cmp_lt_u32 s82, s66                                      // 0000000091B8: BF0A4252
	s_cselect_b32 s21, s36, s60                                // 0000000091BC: 85153C24
	s_mov_b64 exec, s[20:21]                                   // 0000000091C0: BEFE0114
	global_atomic_add_f32 v6, v153, s[8:9]                     // 0000000091C4: DD348000 00089906
	s_mov_b64 exec, s[36:37]                                   // 0000000091CC: BEFE0124
	v_mov_b32_e32 v6, v82                                      // 0000000091D0: 7E0C0352
	s_mov_b64 s[60:61], 0                                      // 0000000091D4: BEBC0180
	v_readlane_b32 s82, v3, 24                                 // 0000000091D8: D2890052 00013103
	s_and_b32 s82, s82, 0xffffff                               // 0000000091E0: 8652FF52 00FFFFFF
	s_cmp_lt_u32 s82, s66                                      // 0000000091E8: BF0A4252
	s_cselect_b32 s20, s36, s60                                // 0000000091EC: 85143C24
	v_readlane_b32 s82, v3, 25                                 // 0000000091F0: D2890052 00013303
	s_and_b32 s82, s82, 0xffffff                               // 0000000091F8: 8652FF52 00FFFFFF
	s_cmp_lt_u32 s82, s66                                      // 000000009200: BF0A4252
	s_cselect_b32 s21, s36, s60                                // 000000009204: 85153C24
	s_mov_b64 exec, s[20:21]                                   // 000000009208: BEFE0114
	global_atomic_add_f32 v6, v156, s[8:9]                     // 00000000920C: DD348000 00089C06
	s_mov_b64 exec, s[36:37]                                   // 000000009214: BEFE0124
	v_mov_b32_e32 v6, v83                                      // 000000009218: 7E0C0353
	s_mov_b64 s[60:61], 0                                      // 00000000921C: BEBC0180
	v_readlane_b32 s82, v3, 26                                 // 000000009220: D2890052 00013503
	s_and_b32 s82, s82, 0xffffff                               // 000000009228: 8652FF52 00FFFFFF
	s_cmp_lt_u32 s82, s66                                      // 000000009230: BF0A4252
	s_cselect_b32 s20, s36, s60                                // 000000009234: 85143C24
	v_readlane_b32 s82, v3, 27                                 // 000000009238: D2890052 00013703
	s_and_b32 s82, s82, 0xffffff                               // 000000009240: 8652FF52 00FFFFFF
	s_cmp_lt_u32 s82, s66                                      // 000000009248: BF0A4252
	s_cselect_b32 s21, s36, s60                                // 00000000924C: 85153C24
	s_mov_b64 exec, s[20:21]                                   // 000000009250: BEFE0114
	global_atomic_add_f32 v6, v157, s[8:9]                     // 000000009254: DD348000 00089D06
	s_mov_b64 exec, s[36:37]                                   // 00000000925C: BEFE0124
	v_mov_b32_e32 v6, v84                                      // 000000009260: 7E0C0354
	s_mov_b64 s[60:61], 0                                      // 000000009264: BEBC0180
	v_readlane_b32 s82, v3, 28                                 // 000000009268: D2890052 00013903
	s_and_b32 s82, s82, 0xffffff                               // 000000009270: 8652FF52 00FFFFFF
	s_cmp_lt_u32 s82, s66                                      // 000000009278: BF0A4252
	s_cselect_b32 s20, s36, s60                                // 00000000927C: 85143C24
	v_readlane_b32 s82, v3, 29                                 // 000000009280: D2890052 00013B03
	s_and_b32 s82, s82, 0xffffff                               // 000000009288: 8652FF52 00FFFFFF
	s_cmp_lt_u32 s82, s66                                      // 000000009290: BF0A4252
	s_cselect_b32 s21, s36, s60                                // 000000009294: 85153C24
	s_mov_b64 exec, s[20:21]                                   // 000000009298: BEFE0114
	global_atomic_add_f32 v6, v160, s[8:9]                     // 00000000929C: DD348000 0008A006
	s_mov_b64 exec, s[36:37]                                   // 0000000092A4: BEFE0124
	v_mov_b32_e32 v6, v85                                      // 0000000092A8: 7E0C0355
	s_mov_b64 s[60:61], 0                                      // 0000000092AC: BEBC0180
	v_readlane_b32 s82, v3, 30                                 // 0000000092B0: D2890052 00013D03
	s_and_b32 s82, s82, 0xffffff                               // 0000000092B8: 8652FF52 00FFFFFF
	s_cmp_lt_u32 s82, s66                                      // 0000000092C0: BF0A4252
	s_cselect_b32 s20, s36, s60                                // 0000000092C4: 85143C24
	v_readlane_b32 s82, v3, 31                                 // 0000000092C8: D2890052 00013F03
	s_and_b32 s82, s82, 0xffffff                               // 0000000092D0: 8652FF52 00FFFFFF
	s_cmp_lt_u32 s82, s66                                      // 0000000092D8: BF0A4252
	s_cselect_b32 s21, s36, s60                                // 0000000092DC: 85153C24
	s_mov_b64 exec, s[20:21]                                   // 0000000092E0: BEFE0114
	global_atomic_add_f32 v6, v161, s[8:9]                     // 0000000092E4: DD348000 0008A106
	s_mov_b64 exec, s[36:37]                                   // 0000000092EC: BEFE0124
	v_mov_b32_e32 v6, v86                                      // 0000000092F0: 7E0C0356
	s_mov_b64 s[60:61], 0                                      // 0000000092F4: BEBC0180
	v_readlane_b32 s82, v3, 32                                 // 0000000092F8: D2890052 00014103
	s_and_b32 s82, s82, 0xffffff                               // 000000009300: 8652FF52 00FFFFFF
	s_cmp_lt_u32 s82, s66                                      // 000000009308: BF0A4252
	s_cselect_b32 s20, s36, s60                                // 00000000930C: 85143C24
	v_readlane_b32 s82, v3, 33                                 // 000000009310: D2890052 00014303
	s_and_b32 s82, s82, 0xffffff                               // 000000009318: 8652FF52 00FFFFFF
	s_cmp_lt_u32 s82, s66                                      // 000000009320: BF0A4252
	s_cselect_b32 s21, s36, s60                                // 000000009324: 85153C24
	s_mov_b64 exec, s[20:21]                                   // 000000009328: BEFE0114
	global_atomic_add_f32 v6, v164, s[8:9]                     // 00000000932C: DD348000 0008A406
	s_mov_b64 exec, s[36:37]                                   // 000000009334: BEFE0124
	v_mov_b32_e32 v6, v87                                      // 000000009338: 7E0C0357
	s_mov_b64 s[60:61], 0                                      // 00000000933C: BEBC0180
	v_readlane_b32 s82, v3, 34                                 // 000000009340: D2890052 00014503
	s_and_b32 s82, s82, 0xffffff                               // 000000009348: 8652FF52 00FFFFFF
	s_cmp_lt_u32 s82, s66                                      // 000000009350: BF0A4252
	s_cselect_b32 s20, s36, s60                                // 000000009354: 85143C24
	v_readlane_b32 s82, v3, 35                                 // 000000009358: D2890052 00014703
	s_and_b32 s82, s82, 0xffffff                               // 000000009360: 8652FF52 00FFFFFF
	s_cmp_lt_u32 s82, s66                                      // 000000009368: BF0A4252
	s_cselect_b32 s21, s36, s60                                // 00000000936C: 85153C24
	s_mov_b64 exec, s[20:21]                                   // 000000009370: BEFE0114
	global_atomic_add_f32 v6, v165, s[8:9]                     // 000000009374: DD348000 0008A506
	s_mov_b64 exec, s[36:37]                                   // 00000000937C: BEFE0124
	v_mov_b32_e32 v6, v88                                      // 000000009380: 7E0C0358
	s_mov_b64 s[60:61], 0                                      // 000000009384: BEBC0180
	v_readlane_b32 s82, v3, 36                                 // 000000009388: D2890052 00014903
	s_and_b32 s82, s82, 0xffffff                               // 000000009390: 8652FF52 00FFFFFF
	s_cmp_lt_u32 s82, s66                                      // 000000009398: BF0A4252
	s_cselect_b32 s20, s36, s60                                // 00000000939C: 85143C24
	v_readlane_b32 s82, v3, 37                                 // 0000000093A0: D2890052 00014B03
	s_and_b32 s82, s82, 0xffffff                               // 0000000093A8: 8652FF52 00FFFFFF
	s_cmp_lt_u32 s82, s66                                      // 0000000093B0: BF0A4252
	s_cselect_b32 s21, s36, s60                                // 0000000093B4: 85153C24
	s_mov_b64 exec, s[20:21]                                   // 0000000093B8: BEFE0114
	global_atomic_add_f32 v6, v168, s[8:9]                     // 0000000093BC: DD348000 0008A806
	s_mov_b64 exec, s[36:37]                                   // 0000000093C4: BEFE0124
	v_mov_b32_e32 v6, v89                                      // 0000000093C8: 7E0C0359
	s_mov_b64 s[60:61], 0                                      // 0000000093CC: BEBC0180
	v_readlane_b32 s82, v3, 38                                 // 0000000093D0: D2890052 00014D03
	s_and_b32 s82, s82, 0xffffff                               // 0000000093D8: 8652FF52 00FFFFFF
	s_cmp_lt_u32 s82, s66                                      // 0000000093E0: BF0A4252
	s_cselect_b32 s20, s36, s60                                // 0000000093E4: 85143C24
	v_readlane_b32 s82, v3, 39                                 // 0000000093E8: D2890052 00014F03
	s_and_b32 s82, s82, 0xffffff                               // 0000000093F0: 8652FF52 00FFFFFF
	s_cmp_lt_u32 s82, s66                                      // 0000000093F8: BF0A4252
	s_cselect_b32 s21, s36, s60                                // 0000000093FC: 85153C24
	s_mov_b64 exec, s[20:21]                                   // 000000009400: BEFE0114
	global_atomic_add_f32 v6, v169, s[8:9]                     // 000000009404: DD348000 0008A906
	s_mov_b64 exec, s[36:37]                                   // 00000000940C: BEFE0124
	ds_write_b64 v20, v[134:135]                               // 000000009410: D89A0000 00008614
	ds_write_b64 v20, v[138:139] offset:2176                   // 000000009418: D89A0880 00008A14
	ds_write_b64 v20, v[142:143] offset:4352                   // 000000009420: D89A1100 00008E14
	ds_write_b64 v20, v[146:147] offset:6528                   // 000000009428: D89A1980 00009214
	ds_write_b64 v20, v[150:151] offset:8704                   // 000000009430: D89A2200 00009614
	ds_write_b64 v20, v[154:155] offset:10880                  // 000000009438: D89A2A80 00009A14
	ds_write_b64 v20, v[158:159] offset:13056                  // 000000009440: D89A3300 00009E14
	ds_write_b64 v20, v[162:163] offset:15232                  // 000000009448: D89A3B80 0000A214
	ds_write_b64 v20, v[166:167] offset:17408                  // 000000009450: D89A4400 0000A614
	ds_write_b64 v20, v[170:171] offset:19584                  // 000000009458: D89A4C80 0000AA14
	s_waitcnt lgkmcnt(0)                                       // 000000009460: BF8CC07F
	s_barrier                                                  // 000000009464: BF8A0000
	ds_read_b32 v134, v21                                      // 000000009468: D86C0000 86000015
	ds_read_b32 v135, v21 offset:64                            // 000000009470: D86C0040 87000015
	ds_read_b32 v138, v21 offset:2176                          // 000000009478: D86C0880 8A000015
	ds_read_b32 v139, v21 offset:2240                          // 000000009480: D86C08C0 8B000015
	ds_read_b32 v142, v21 offset:4352                          // 000000009488: D86C1100 8E000015
	ds_read_b32 v143, v21 offset:4416                          // 000000009490: D86C1140 8F000015
	ds_read_b32 v146, v21 offset:6528                          // 000000009498: D86C1980 92000015
	ds_read_b32 v147, v21 offset:6592                          // 0000000094A0: D86C19C0 93000015
	ds_read_b32 v150, v21 offset:8704                          // 0000000094A8: D86C2200 96000015
	ds_read_b32 v151, v21 offset:8768                          // 0000000094B0: D86C2240 97000015
	ds_read_b32 v154, v21 offset:10880                         // 0000000094B8: D86C2A80 9A000015
	ds_read_b32 v155, v21 offset:10944                         // 0000000094C0: D86C2AC0 9B000015
	ds_read_b32 v158, v21 offset:13056                         // 0000000094C8: D86C3300 9E000015
	ds_read_b32 v159, v21 offset:13120                         // 0000000094D0: D86C3340 9F000015
	ds_read_b32 v162, v21 offset:15232                         // 0000000094D8: D86C3B80 A2000015
	ds_read_b32 v163, v21 offset:15296                         // 0000000094E0: D86C3BC0 A3000015
	ds_read_b32 v166, v21 offset:17408                         // 0000000094E8: D86C4400 A6000015
	ds_read_b32 v167, v21 offset:17472                         // 0000000094F0: D86C4440 A7000015
	ds_read_b32 v170, v21 offset:19584                         // 0000000094F8: D86C4C80 AA000015
	ds_read_b32 v171, v21 offset:19648                         // 000000009500: D86C4CC0 AB000015
	s_waitcnt lgkmcnt(0)                                       // 000000009508: BF8CC07F
	v_mov_b32_e32 v7, 0                                        // 00000000950C: 7E0E0280
	s_mov_b64 exec, s[36:37]                                   // 000000009510: BEFE0124
	v_mov_b32_e32 v6, v70                                      // 000000009514: 7E0C0346
	s_mov_b64 s[60:61], 0                                      // 000000009518: BEBC0180
	v_readlane_b32 s82, v3, 0                                  // 00000000951C: D2890052 00010103
	s_and_b32 s82, s82, 0xffffff                               // 000000009524: 8652FF52 00FFFFFF
	s_cmp_lt_u32 s82, s66                                      // 00000000952C: BF0A4252
	s_cselect_b32 s20, s36, s60                                // 000000009530: 85143C24
	v_readlane_b32 s82, v3, 1                                  // 000000009534: D2890052 00010303
	s_and_b32 s82, s82, 0xffffff                               // 00000000953C: 8652FF52 00FFFFFF
	s_cmp_lt_u32 s82, s66                                      // 000000009544: BF0A4252
	s_cselect_b32 s21, s36, s60                                // 000000009548: 85153C24
	s_mov_b64 exec, s[20:21]                                   // 00000000954C: BEFE0114
	global_atomic_add_f32 v6, v134, s[8:9] offset:8            // 000000009550: DD348008 00088606
	s_mov_b64 exec, s[36:37]                                   // 000000009558: BEFE0124
	v_mov_b32_e32 v6, v71                                      // 00000000955C: 7E0C0347
	s_mov_b64 s[60:61], 0                                      // 000000009560: BEBC0180
	v_readlane_b32 s82, v3, 2                                  // 000000009564: D2890052 00010503
	s_and_b32 s82, s82, 0xffffff                               // 00000000956C: 8652FF52 00FFFFFF
	s_cmp_lt_u32 s82, s66                                      // 000000009574: BF0A4252
	s_cselect_b32 s20, s36, s60                                // 000000009578: 85143C24
	v_readlane_b32 s82, v3, 3                                  // 00000000957C: D2890052 00010703
	s_and_b32 s82, s82, 0xffffff                               // 000000009584: 8652FF52 00FFFFFF
	s_cmp_lt_u32 s82, s66                                      // 00000000958C: BF0A4252
	s_cselect_b32 s21, s36, s60                                // 000000009590: 85153C24
	s_mov_b64 exec, s[20:21]                                   // 000000009594: BEFE0114
	global_atomic_add_f32 v6, v135, s[8:9] offset:8            // 000000009598: DD348008 00088706
	s_mov_b64 exec, s[36:37]                                   // 0000000095A0: BEFE0124
	v_mov_b32_e32 v6, v72                                      // 0000000095A4: 7E0C0348
	s_mov_b64 s[60:61], 0                                      // 0000000095A8: BEBC0180
	v_readlane_b32 s82, v3, 4                                  // 0000000095AC: D2890052 00010903
	s_and_b32 s82, s82, 0xffffff                               // 0000000095B4: 8652FF52 00FFFFFF
	s_cmp_lt_u32 s82, s66                                      // 0000000095BC: BF0A4252
	s_cselect_b32 s20, s36, s60                                // 0000000095C0: 85143C24
	v_readlane_b32 s82, v3, 5                                  // 0000000095C4: D2890052 00010B03
	s_and_b32 s82, s82, 0xffffff                               // 0000000095CC: 8652FF52 00FFFFFF
	s_cmp_lt_u32 s82, s66                                      // 0000000095D4: BF0A4252
	s_cselect_b32 s21, s36, s60                                // 0000000095D8: 85153C24
	s_mov_b64 exec, s[20:21]                                   // 0000000095DC: BEFE0114
	global_atomic_add_f32 v6, v138, s[8:9] offset:8            // 0000000095E0: DD348008 00088A06
	s_mov_b64 exec, s[36:37]                                   // 0000000095E8: BEFE0124
	v_mov_b32_e32 v6, v73                                      // 0000000095EC: 7E0C0349
	s_mov_b64 s[60:61], 0                                      // 0000000095F0: BEBC0180
	v_readlane_b32 s82, v3, 6                                  // 0000000095F4: D2890052 00010D03
	s_and_b32 s82, s82, 0xffffff                               // 0000000095FC: 8652FF52 00FFFFFF
	s_cmp_lt_u32 s82, s66                                      // 000000009604: BF0A4252
	s_cselect_b32 s20, s36, s60                                // 000000009608: 85143C24
	v_readlane_b32 s82, v3, 7                                  // 00000000960C: D2890052 00010F03
	s_and_b32 s82, s82, 0xffffff                               // 000000009614: 8652FF52 00FFFFFF
	s_cmp_lt_u32 s82, s66                                      // 00000000961C: BF0A4252
	s_cselect_b32 s21, s36, s60                                // 000000009620: 85153C24
	s_mov_b64 exec, s[20:21]                                   // 000000009624: BEFE0114
	global_atomic_add_f32 v6, v139, s[8:9] offset:8            // 000000009628: DD348008 00088B06
	s_mov_b64 exec, s[36:37]                                   // 000000009630: BEFE0124
	v_mov_b32_e32 v6, v74                                      // 000000009634: 7E0C034A
	s_mov_b64 s[60:61], 0                                      // 000000009638: BEBC0180
	v_readlane_b32 s82, v3, 8                                  // 00000000963C: D2890052 00011103
	s_and_b32 s82, s82, 0xffffff                               // 000000009644: 8652FF52 00FFFFFF
	s_cmp_lt_u32 s82, s66                                      // 00000000964C: BF0A4252
	s_cselect_b32 s20, s36, s60                                // 000000009650: 85143C24
	v_readlane_b32 s82, v3, 9                                  // 000000009654: D2890052 00011303
	s_and_b32 s82, s82, 0xffffff                               // 00000000965C: 8652FF52 00FFFFFF
	s_cmp_lt_u32 s82, s66                                      // 000000009664: BF0A4252
	s_cselect_b32 s21, s36, s60                                // 000000009668: 85153C24
	s_mov_b64 exec, s[20:21]                                   // 00000000966C: BEFE0114
	global_atomic_add_f32 v6, v142, s[8:9] offset:8            // 000000009670: DD348008 00088E06
	s_mov_b64 exec, s[36:37]                                   // 000000009678: BEFE0124
	v_mov_b32_e32 v6, v75                                      // 00000000967C: 7E0C034B
	s_mov_b64 s[60:61], 0                                      // 000000009680: BEBC0180
	v_readlane_b32 s82, v3, 10                                 // 000000009684: D2890052 00011503
	s_and_b32 s82, s82, 0xffffff                               // 00000000968C: 8652FF52 00FFFFFF
	s_cmp_lt_u32 s82, s66                                      // 000000009694: BF0A4252
	s_cselect_b32 s20, s36, s60                                // 000000009698: 85143C24
	v_readlane_b32 s82, v3, 11                                 // 00000000969C: D2890052 00011703
	s_and_b32 s82, s82, 0xffffff                               // 0000000096A4: 8652FF52 00FFFFFF
	s_cmp_lt_u32 s82, s66                                      // 0000000096AC: BF0A4252
	s_cselect_b32 s21, s36, s60                                // 0000000096B0: 85153C24
	s_mov_b64 exec, s[20:21]                                   // 0000000096B4: BEFE0114
	global_atomic_add_f32 v6, v143, s[8:9] offset:8            // 0000000096B8: DD348008 00088F06
	s_mov_b64 exec, s[36:37]                                   // 0000000096C0: BEFE0124
	v_mov_b32_e32 v6, v76                                      // 0000000096C4: 7E0C034C
	s_mov_b64 s[60:61], 0                                      // 0000000096C8: BEBC0180
	v_readlane_b32 s82, v3, 12                                 // 0000000096CC: D2890052 00011903
	s_and_b32 s82, s82, 0xffffff                               // 0000000096D4: 8652FF52 00FFFFFF
	s_cmp_lt_u32 s82, s66                                      // 0000000096DC: BF0A4252
	s_cselect_b32 s20, s36, s60                                // 0000000096E0: 85143C24
	v_readlane_b32 s82, v3, 13                                 // 0000000096E4: D2890052 00011B03
	s_and_b32 s82, s82, 0xffffff                               // 0000000096EC: 8652FF52 00FFFFFF
	s_cmp_lt_u32 s82, s66                                      // 0000000096F4: BF0A4252
	s_cselect_b32 s21, s36, s60                                // 0000000096F8: 85153C24
	s_mov_b64 exec, s[20:21]                                   // 0000000096FC: BEFE0114
	global_atomic_add_f32 v6, v146, s[8:9] offset:8            // 000000009700: DD348008 00089206
	s_mov_b64 exec, s[36:37]                                   // 000000009708: BEFE0124
	v_mov_b32_e32 v6, v77                                      // 00000000970C: 7E0C034D
	s_mov_b64 s[60:61], 0                                      // 000000009710: BEBC0180
	v_readlane_b32 s82, v3, 14                                 // 000000009714: D2890052 00011D03
	s_and_b32 s82, s82, 0xffffff                               // 00000000971C: 8652FF52 00FFFFFF
	s_cmp_lt_u32 s82, s66                                      // 000000009724: BF0A4252
	s_cselect_b32 s20, s36, s60                                // 000000009728: 85143C24
	v_readlane_b32 s82, v3, 15                                 // 00000000972C: D2890052 00011F03
	s_and_b32 s82, s82, 0xffffff                               // 000000009734: 8652FF52 00FFFFFF
	s_cmp_lt_u32 s82, s66                                      // 00000000973C: BF0A4252
	s_cselect_b32 s21, s36, s60                                // 000000009740: 85153C24
	s_mov_b64 exec, s[20:21]                                   // 000000009744: BEFE0114
	global_atomic_add_f32 v6, v147, s[8:9] offset:8            // 000000009748: DD348008 00089306
	s_mov_b64 exec, s[36:37]                                   // 000000009750: BEFE0124
	v_mov_b32_e32 v6, v78                                      // 000000009754: 7E0C034E
	s_mov_b64 s[60:61], 0                                      // 000000009758: BEBC0180
	v_readlane_b32 s82, v3, 16                                 // 00000000975C: D2890052 00012103
	s_and_b32 s82, s82, 0xffffff                               // 000000009764: 8652FF52 00FFFFFF
	s_cmp_lt_u32 s82, s66                                      // 00000000976C: BF0A4252
	s_cselect_b32 s20, s36, s60                                // 000000009770: 85143C24
	v_readlane_b32 s82, v3, 17                                 // 000000009774: D2890052 00012303
	s_and_b32 s82, s82, 0xffffff                               // 00000000977C: 8652FF52 00FFFFFF
	s_cmp_lt_u32 s82, s66                                      // 000000009784: BF0A4252
	s_cselect_b32 s21, s36, s60                                // 000000009788: 85153C24
	s_mov_b64 exec, s[20:21]                                   // 00000000978C: BEFE0114
	global_atomic_add_f32 v6, v150, s[8:9] offset:8            // 000000009790: DD348008 00089606
	s_mov_b64 exec, s[36:37]                                   // 000000009798: BEFE0124
	v_mov_b32_e32 v6, v79                                      // 00000000979C: 7E0C034F
	s_mov_b64 s[60:61], 0                                      // 0000000097A0: BEBC0180
	v_readlane_b32 s82, v3, 18                                 // 0000000097A4: D2890052 00012503
	s_and_b32 s82, s82, 0xffffff                               // 0000000097AC: 8652FF52 00FFFFFF
	s_cmp_lt_u32 s82, s66                                      // 0000000097B4: BF0A4252
	s_cselect_b32 s20, s36, s60                                // 0000000097B8: 85143C24
	v_readlane_b32 s82, v3, 19                                 // 0000000097BC: D2890052 00012703
	s_and_b32 s82, s82, 0xffffff                               // 0000000097C4: 8652FF52 00FFFFFF
	s_cmp_lt_u32 s82, s66                                      // 0000000097CC: BF0A4252
	s_cselect_b32 s21, s36, s60                                // 0000000097D0: 85153C24
	s_mov_b64 exec, s[20:21]                                   // 0000000097D4: BEFE0114
	global_atomic_add_f32 v6, v151, s[8:9] offset:8            // 0000000097D8: DD348008 00089706
	s_mov_b64 exec, s[36:37]                                   // 0000000097E0: BEFE0124
	v_mov_b32_e32 v6, v80                                      // 0000000097E4: 7E0C0350
	s_mov_b64 s[60:61], 0                                      // 0000000097E8: BEBC0180
	v_readlane_b32 s82, v3, 20                                 // 0000000097EC: D2890052 00012903
	s_and_b32 s82, s82, 0xffffff                               // 0000000097F4: 8652FF52 00FFFFFF
	s_cmp_lt_u32 s82, s66                                      // 0000000097FC: BF0A4252
	s_cselect_b32 s20, s36, s60                                // 000000009800: 85143C24
	v_readlane_b32 s82, v3, 21                                 // 000000009804: D2890052 00012B03
	s_and_b32 s82, s82, 0xffffff                               // 00000000980C: 8652FF52 00FFFFFF
	s_cmp_lt_u32 s82, s66                                      // 000000009814: BF0A4252
	s_cselect_b32 s21, s36, s60                                // 000000009818: 85153C24
	s_mov_b64 exec, s[20:21]                                   // 00000000981C: BEFE0114
	global_atomic_add_f32 v6, v154, s[8:9] offset:8            // 000000009820: DD348008 00089A06
	s_mov_b64 exec, s[36:37]                                   // 000000009828: BEFE0124
	v_mov_b32_e32 v6, v81                                      // 00000000982C: 7E0C0351
	s_mov_b64 s[60:61], 0                                      // 000000009830: BEBC0180
	v_readlane_b32 s82, v3, 22                                 // 000000009834: D2890052 00012D03
	s_and_b32 s82, s82, 0xffffff                               // 00000000983C: 8652FF52 00FFFFFF
	s_cmp_lt_u32 s82, s66                                      // 000000009844: BF0A4252
	s_cselect_b32 s20, s36, s60                                // 000000009848: 85143C24
	v_readlane_b32 s82, v3, 23                                 // 00000000984C: D2890052 00012F03
	s_and_b32 s82, s82, 0xffffff                               // 000000009854: 8652FF52 00FFFFFF
	s_cmp_lt_u32 s82, s66                                      // 00000000985C: BF0A4252
	s_cselect_b32 s21, s36, s60                                // 000000009860: 85153C24
	s_mov_b64 exec, s[20:21]                                   // 000000009864: BEFE0114
	global_atomic_add_f32 v6, v155, s[8:9] offset:8            // 000000009868: DD348008 00089B06
	s_mov_b64 exec, s[36:37]                                   // 000000009870: BEFE0124
	v_mov_b32_e32 v6, v82                                      // 000000009874: 7E0C0352
	s_mov_b64 s[60:61], 0                                      // 000000009878: BEBC0180
	v_readlane_b32 s82, v3, 24                                 // 00000000987C: D2890052 00013103
	s_and_b32 s82, s82, 0xffffff                               // 000000009884: 8652FF52 00FFFFFF
	s_cmp_lt_u32 s82, s66                                      // 00000000988C: BF0A4252
	s_cselect_b32 s20, s36, s60                                // 000000009890: 85143C24
	v_readlane_b32 s82, v3, 25                                 // 000000009894: D2890052 00013303
	s_and_b32 s82, s82, 0xffffff                               // 00000000989C: 8652FF52 00FFFFFF
	s_cmp_lt_u32 s82, s66                                      // 0000000098A4: BF0A4252
	s_cselect_b32 s21, s36, s60                                // 0000000098A8: 85153C24
	s_mov_b64 exec, s[20:21]                                   // 0000000098AC: BEFE0114
	global_atomic_add_f32 v6, v158, s[8:9] offset:8            // 0000000098B0: DD348008 00089E06
	s_mov_b64 exec, s[36:37]                                   // 0000000098B8: BEFE0124
	v_mov_b32_e32 v6, v83                                      // 0000000098BC: 7E0C0353
	s_mov_b64 s[60:61], 0                                      // 0000000098C0: BEBC0180
	v_readlane_b32 s82, v3, 26                                 // 0000000098C4: D2890052 00013503
	s_and_b32 s82, s82, 0xffffff                               // 0000000098CC: 8652FF52 00FFFFFF
	s_cmp_lt_u32 s82, s66                                      // 0000000098D4: BF0A4252
	s_cselect_b32 s20, s36, s60                                // 0000000098D8: 85143C24
	v_readlane_b32 s82, v3, 27                                 // 0000000098DC: D2890052 00013703
	s_and_b32 s82, s82, 0xffffff                               // 0000000098E4: 8652FF52 00FFFFFF
	s_cmp_lt_u32 s82, s66                                      // 0000000098EC: BF0A4252
	s_cselect_b32 s21, s36, s60                                // 0000000098F0: 85153C24
	s_mov_b64 exec, s[20:21]                                   // 0000000098F4: BEFE0114
	global_atomic_add_f32 v6, v159, s[8:9] offset:8            // 0000000098F8: DD348008 00089F06
	s_mov_b64 exec, s[36:37]                                   // 000000009900: BEFE0124
	v_mov_b32_e32 v6, v84                                      // 000000009904: 7E0C0354
	s_mov_b64 s[60:61], 0                                      // 000000009908: BEBC0180
	v_readlane_b32 s82, v3, 28                                 // 00000000990C: D2890052 00013903
	s_and_b32 s82, s82, 0xffffff                               // 000000009914: 8652FF52 00FFFFFF
	s_cmp_lt_u32 s82, s66                                      // 00000000991C: BF0A4252
	s_cselect_b32 s20, s36, s60                                // 000000009920: 85143C24
	v_readlane_b32 s82, v3, 29                                 // 000000009924: D2890052 00013B03
	s_and_b32 s82, s82, 0xffffff                               // 00000000992C: 8652FF52 00FFFFFF
	s_cmp_lt_u32 s82, s66                                      // 000000009934: BF0A4252
	s_cselect_b32 s21, s36, s60                                // 000000009938: 85153C24
	s_mov_b64 exec, s[20:21]                                   // 00000000993C: BEFE0114
	global_atomic_add_f32 v6, v162, s[8:9] offset:8            // 000000009940: DD348008 0008A206
	s_mov_b64 exec, s[36:37]                                   // 000000009948: BEFE0124
	v_mov_b32_e32 v6, v85                                      // 00000000994C: 7E0C0355
	s_mov_b64 s[60:61], 0                                      // 000000009950: BEBC0180
	v_readlane_b32 s82, v3, 30                                 // 000000009954: D2890052 00013D03
	s_and_b32 s82, s82, 0xffffff                               // 00000000995C: 8652FF52 00FFFFFF
	s_cmp_lt_u32 s82, s66                                      // 000000009964: BF0A4252
	s_cselect_b32 s20, s36, s60                                // 000000009968: 85143C24
	v_readlane_b32 s82, v3, 31                                 // 00000000996C: D2890052 00013F03
	s_and_b32 s82, s82, 0xffffff                               // 000000009974: 8652FF52 00FFFFFF
	s_cmp_lt_u32 s82, s66                                      // 00000000997C: BF0A4252
	s_cselect_b32 s21, s36, s60                                // 000000009980: 85153C24
	s_mov_b64 exec, s[20:21]                                   // 000000009984: BEFE0114
	global_atomic_add_f32 v6, v163, s[8:9] offset:8            // 000000009988: DD348008 0008A306
	s_mov_b64 exec, s[36:37]                                   // 000000009990: BEFE0124
	v_mov_b32_e32 v6, v86                                      // 000000009994: 7E0C0356
	s_mov_b64 s[60:61], 0                                      // 000000009998: BEBC0180
	v_readlane_b32 s82, v3, 32                                 // 00000000999C: D2890052 00014103
	s_and_b32 s82, s82, 0xffffff                               // 0000000099A4: 8652FF52 00FFFFFF
	s_cmp_lt_u32 s82, s66                                      // 0000000099AC: BF0A4252
	s_cselect_b32 s20, s36, s60                                // 0000000099B0: 85143C24
	v_readlane_b32 s82, v3, 33                                 // 0000000099B4: D2890052 00014303
	s_and_b32 s82, s82, 0xffffff                               // 0000000099BC: 8652FF52 00FFFFFF
	s_cmp_lt_u32 s82, s66                                      // 0000000099C4: BF0A4252
	s_cselect_b32 s21, s36, s60                                // 0000000099C8: 85153C24
	s_mov_b64 exec, s[20:21]                                   // 0000000099CC: BEFE0114
	global_atomic_add_f32 v6, v166, s[8:9] offset:8            // 0000000099D0: DD348008 0008A606
	s_mov_b64 exec, s[36:37]                                   // 0000000099D8: BEFE0124
	v_mov_b32_e32 v6, v87                                      // 0000000099DC: 7E0C0357
	s_mov_b64 s[60:61], 0                                      // 0000000099E0: BEBC0180
	v_readlane_b32 s82, v3, 34                                 // 0000000099E4: D2890052 00014503
	s_and_b32 s82, s82, 0xffffff                               // 0000000099EC: 8652FF52 00FFFFFF
	s_cmp_lt_u32 s82, s66                                      // 0000000099F4: BF0A4252
	s_cselect_b32 s20, s36, s60                                // 0000000099F8: 85143C24
	v_readlane_b32 s82, v3, 35                                 // 0000000099FC: D2890052 00014703
	s_and_b32 s82, s82, 0xffffff                               // 000000009A04: 8652FF52 00FFFFFF
	s_cmp_lt_u32 s82, s66                                      // 000000009A0C: BF0A4252
	s_cselect_b32 s21, s36, s60                                // 000000009A10: 85153C24
	s_mov_b64 exec, s[20:21]                                   // 000000009A14: BEFE0114
	global_atomic_add_f32 v6, v167, s[8:9] offset:8            // 000000009A18: DD348008 0008A706
	s_mov_b64 exec, s[36:37]                                   // 000000009A20: BEFE0124
	v_mov_b32_e32 v6, v88                                      // 000000009A24: 7E0C0358
	s_mov_b64 s[60:61], 0                                      // 000000009A28: BEBC0180
	v_readlane_b32 s82, v3, 36                                 // 000000009A2C: D2890052 00014903
	s_and_b32 s82, s82, 0xffffff                               // 000000009A34: 8652FF52 00FFFFFF
	s_cmp_lt_u32 s82, s66                                      // 000000009A3C: BF0A4252
	s_cselect_b32 s20, s36, s60                                // 000000009A40: 85143C24
	v_readlane_b32 s82, v3, 37                                 // 000000009A44: D2890052 00014B03
	s_and_b32 s82, s82, 0xffffff                               // 000000009A4C: 8652FF52 00FFFFFF
	s_cmp_lt_u32 s82, s66                                      // 000000009A54: BF0A4252
	s_cselect_b32 s21, s36, s60                                // 000000009A58: 85153C24
	s_mov_b64 exec, s[20:21]                                   // 000000009A5C: BEFE0114
	global_atomic_add_f32 v6, v170, s[8:9] offset:8            // 000000009A60: DD348008 0008AA06
	s_mov_b64 exec, s[36:37]                                   // 000000009A68: BEFE0124
	v_mov_b32_e32 v6, v89                                      // 000000009A6C: 7E0C0359
	s_mov_b64 s[60:61], 0                                      // 000000009A70: BEBC0180
	v_readlane_b32 s82, v3, 38                                 // 000000009A74: D2890052 00014D03
	s_and_b32 s82, s82, 0xffffff                               // 000000009A7C: 8652FF52 00FFFFFF
	s_cmp_lt_u32 s82, s66                                      // 000000009A84: BF0A4252
	s_cselect_b32 s20, s36, s60                                // 000000009A88: 85143C24
	v_readlane_b32 s82, v3, 39                                 // 000000009A8C: D2890052 00014F03
	s_and_b32 s82, s82, 0xffffff                               // 000000009A94: 8652FF52 00FFFFFF
	s_cmp_lt_u32 s82, s66                                      // 000000009A9C: BF0A4252
	s_cselect_b32 s21, s36, s60                                // 000000009AA0: 85153C24
	s_mov_b64 exec, s[20:21]                                   // 000000009AA4: BEFE0114
	global_atomic_add_f32 v6, v171, s[8:9] offset:8            // 000000009AA8: DD348008 0008AB06
	s_mov_b64 exec, s[36:37]                                   // 000000009AB0: BEFE0124
	s_branch label_3463                                        // 000000009AB4: BF821832

0000000000009ab8 <label_1C31>:
	s_waitcnt vmcnt(22) lgkmcnt(0)                             // 000000009AB8: BF8C4076
	v_mfma_f32_16x16x32_fp8_fp8 v[92:95], a[160:161], a[0:1], v[92:95]// 000000009ABC: D3F3005C 1D7201A0
	buffer_load_dwordx4 a[176:179], v90, s[24:27], 0 offen     // 000000009AC4: E05C1000 8086B05A
	v_mfma_f32_16x16x32_fp8_fp8 v[92:95], a[162:163], a[2:3], v[92:95]// 000000009ACC: D3F3005C 1D7205A2
	v_mfma_f32_16x16x32_fp8_fp8 v[92:95], a[164:165], a[4:5], v[92:95]// 000000009AD4: D3F3005C 1D7209A4
	v_mfma_f32_16x16x32_fp8_fp8 v[92:95], a[166:167], a[6:7], v[92:95]// 000000009ADC: D3F3005C 1D720DA6
	v_mfma_f32_16x16x32_fp8_fp8 v[96:99], a[160:161], a[8:9], v[96:99]// 000000009AE4: D3F30060 1D8211A0
	buffer_load_dwordx4 a[180:183], v90, s[24:27], 0 offen offset:1024// 000000009AEC: E05C1400 8086B45A
	buffer_load_dword v70, s[20:23], 0 offen lds               // 000000009AF4: E0511000 80050046
	s_add_u32 m0, 0x100, s50                                   // 000000009AFC: 807C32FF 00000100
	v_mfma_f32_16x16x32_fp8_fp8 v[96:99], a[162:163], a[10:11], v[96:99]// 000000009B04: D3F30060 1D8215A2
	v_mfma_f32_16x16x32_fp8_fp8 v[96:99], a[164:165], a[12:13], v[96:99]// 000000009B0C: D3F30060 1D8219A4
	buffer_load_dword v71, s[20:23], 0 offen lds               // 000000009B14: E0511000 80050047
	s_add_u32 m0, 0x200, s50                                   // 000000009B1C: 807C32FF 00000200
	v_mfma_f32_16x16x32_fp8_fp8 v[96:99], a[166:167], a[14:15], v[96:99]// 000000009B24: D3F30060 1D821DA6
	v_mfma_f32_16x16x32_fp8_fp8 v[100:103], a[160:161], a[16:17], v[100:103]// 000000009B2C: D3F30064 1D9221A0
	buffer_load_dword v72, s[20:23], 0 offen lds               // 000000009B34: E0511000 80050048
	s_add_u32 m0, 0x300, s50                                   // 000000009B3C: 807C32FF 00000300
	v_mfma_f32_16x16x32_fp8_fp8 v[100:103], a[162:163], a[18:19], v[100:103]// 000000009B44: D3F30064 1D9225A2
	v_mfma_f32_16x16x32_fp8_fp8 v[100:103], a[164:165], a[20:21], v[100:103]// 000000009B4C: D3F30064 1D9229A4
	buffer_load_dword v73, s[20:23], 0 offen lds               // 000000009B54: E0511000 80050049
	s_add_u32 m0, 0x400, s50                                   // 000000009B5C: 807C32FF 00000400
	v_mfma_f32_16x16x32_fp8_fp8 v[100:103], a[166:167], a[22:23], v[100:103]// 000000009B64: D3F30064 1D922DA6
	v_mfma_f32_16x16x32_fp8_fp8 v[104:107], a[160:161], a[24:25], v[104:107]// 000000009B6C: D3F30068 1DA231A0
	buffer_load_dword v74, s[20:23], 0 offen lds               // 000000009B74: E0511000 8005004A
	s_add_u32 m0, 0x500, s50                                   // 000000009B7C: 807C32FF 00000500
	v_mfma_f32_16x16x32_fp8_fp8 v[104:107], a[162:163], a[26:27], v[104:107]// 000000009B84: D3F30068 1DA235A2
	v_mfma_f32_16x16x32_fp8_fp8 v[104:107], a[164:165], a[28:29], v[104:107]// 000000009B8C: D3F30068 1DA239A4
	buffer_load_dword v75, s[20:23], 0 offen lds               // 000000009B94: E0511000 8005004B
	s_add_u32 m0, 0x600, s50                                   // 000000009B9C: 807C32FF 00000600
	v_mfma_f32_16x16x32_fp8_fp8 v[104:107], a[166:167], a[30:31], v[104:107]// 000000009BA4: D3F30068 1DA23DA6
	v_mfma_f32_16x16x32_fp8_fp8 v[108:111], a[160:161], a[32:33], v[108:111]// 000000009BAC: D3F3006C 1DB241A0
	buffer_load_dword v76, s[20:23], 0 offen lds               // 000000009BB4: E0511000 8005004C
	s_add_u32 m0, 0x700, s50                                   // 000000009BBC: 807C32FF 00000700
	v_mfma_f32_16x16x32_fp8_fp8 v[108:111], a[162:163], a[34:35], v[108:111]// 000000009BC4: D3F3006C 1DB245A2
	v_mfma_f32_16x16x32_fp8_fp8 v[108:111], a[164:165], a[36:37], v[108:111]// 000000009BCC: D3F3006C 1DB249A4
	buffer_load_dword v77, s[20:23], 0 offen lds               // 000000009BD4: E0511000 8005004D
	s_add_u32 m0, 0x800, s50                                   // 000000009BDC: 807C32FF 00000800
	v_mfma_f32_16x16x32_fp8_fp8 v[108:111], a[166:167], a[38:39], v[108:111]// 000000009BE4: D3F3006C 1DB24DA6
	v_mfma_f32_16x16x32_fp8_fp8 v[112:115], a[160:161], a[40:41], v[112:115]// 000000009BEC: D3F30070 1DC251A0
	buffer_load_dword v78, s[20:23], 0 offen lds               // 000000009BF4: E0511000 8005004E
	s_add_u32 m0, 0x900, s50                                   // 000000009BFC: 807C32FF 00000900
	v_mfma_f32_16x16x32_fp8_fp8 v[112:115], a[162:163], a[42:43], v[112:115]// 000000009C04: D3F30070 1DC255A2
	v_mfma_f32_16x16x32_fp8_fp8 v[112:115], a[164:165], a[44:45], v[112:115]// 000000009C0C: D3F30070 1DC259A4
	buffer_load_dword v79, s[20:23], 0 offen lds               // 000000009C14: E0511000 8005004F
	s_add_u32 m0, 0xa00, s50                                   // 000000009C1C: 807C32FF 00000A00
	v_mfma_f32_16x16x32_fp8_fp8 v[112:115], a[166:167], a[46:47], v[112:115]// 000000009C24: D3F30070 1DC25DA6
	v_mfma_f32_16x16x32_fp8_fp8 v[116:119], a[160:161], a[48:49], v[116:119]// 000000009C2C: D3F30074 1DD261A0
	buffer_load_dword v80, s[20:23], 0 offen lds               // 000000009C34: E0511000 80050050
	s_add_u32 m0, 0xb00, s50                                   // 000000009C3C: 807C32FF 00000B00
	v_mfma_f32_16x16x32_fp8_fp8 v[116:119], a[162:163], a[50:51], v[116:119]// 000000009C44: D3F30074 1DD265A2
	v_mfma_f32_16x16x32_fp8_fp8 v[116:119], a[164:165], a[52:53], v[116:119]// 000000009C4C: D3F30074 1DD269A4
	buffer_load_dword v81, s[20:23], 0 offen lds               // 000000009C54: E0511000 80050051
	s_add_u32 m0, 0xc00, s50                                   // 000000009C5C: 807C32FF 00000C00
	v_mfma_f32_16x16x32_fp8_fp8 v[116:119], a[166:167], a[54:55], v[116:119]// 000000009C64: D3F30074 1DD26DA6
	v_mfma_f32_16x16x32_fp8_fp8 v[120:123], a[160:161], a[56:57], v[120:123]// 000000009C6C: D3F30078 1DE271A0
	buffer_load_dword v82, s[20:23], 0 offen lds               // 000000009C74: E0511000 80050052
	s_add_u32 m0, 0xd00, s50                                   // 000000009C7C: 807C32FF 00000D00
	v_mfma_f32_16x16x32_fp8_fp8 v[120:123], a[162:163], a[58:59], v[120:123]// 000000009C84: D3F30078 1DE275A2
	v_mfma_f32_16x16x32_fp8_fp8 v[120:123], a[164:165], a[60:61], v[120:123]// 000000009C8C: D3F30078 1DE279A4
	buffer_load_dword v83, s[20:23], 0 offen lds               // 000000009C94: E0511000 80050053
	s_add_u32 m0, 0xe00, s50                                   // 000000009C9C: 807C32FF 00000E00
	v_mfma_f32_16x16x32_fp8_fp8 v[120:123], a[166:167], a[62:63], v[120:123]// 000000009CA4: D3F30078 1DE27DA6
	v_mfma_f32_16x16x32_fp8_fp8 v[124:127], a[160:161], a[64:65], v[124:127]// 000000009CAC: D3F3007C 1DF281A0
	buffer_load_dword v84, s[20:23], 0 offen lds               // 000000009CB4: E0511000 80050054
	s_add_u32 m0, 0xf00, s50                                   // 000000009CBC: 807C32FF 00000F00
	v_mfma_f32_16x16x32_fp8_fp8 v[124:127], a[162:163], a[66:67], v[124:127]// 000000009CC4: D3F3007C 1DF285A2
	v_mfma_f32_16x16x32_fp8_fp8 v[124:127], a[164:165], a[68:69], v[124:127]// 000000009CCC: D3F3007C 1DF289A4
	buffer_load_dword v85, s[20:23], 0 offen lds               // 000000009CD4: E0511000 80050055
	s_add_u32 m0, 0x1000, s50                                  // 000000009CDC: 807C32FF 00001000
	v_mfma_f32_16x16x32_fp8_fp8 v[124:127], a[166:167], a[70:71], v[124:127]// 000000009CE4: D3F3007C 1DF28DA6
	v_mfma_f32_16x16x32_fp8_fp8 v[128:131], a[160:161], a[72:73], v[128:131]// 000000009CEC: D3F30080 1E0291A0
	buffer_load_dword v86, s[20:23], 0 offen lds               // 000000009CF4: E0511000 80050056
	s_add_u32 m0, 0x1100, s50                                  // 000000009CFC: 807C32FF 00001100
	v_mfma_f32_16x16x32_fp8_fp8 v[128:131], a[162:163], a[74:75], v[128:131]// 000000009D04: D3F30080 1E0295A2
	v_mfma_f32_16x16x32_fp8_fp8 v[128:131], a[164:165], a[76:77], v[128:131]// 000000009D0C: D3F30080 1E0299A4
	buffer_load_dword v87, s[20:23], 0 offen lds               // 000000009D14: E0511000 80050057
	s_add_u32 m0, 0x1200, s50                                  // 000000009D1C: 807C32FF 00001200
	v_mfma_f32_16x16x32_fp8_fp8 v[128:131], a[166:167], a[78:79], v[128:131]// 000000009D24: D3F30080 1E029DA6
	buffer_load_dword v88, s[20:23], 0 offen lds               // 000000009D2C: E0511000 80050058
	s_add_u32 m0, 0x1300, s50                                  // 000000009D34: 807C32FF 00001300
	buffer_load_dword v89, s[20:23], 0 offen lds               // 000000009D3C: E0511000 80050059
	s_add_u32 m0, 0, s48                                       // 000000009D44: 807C3080
	s_waitcnt vmcnt(22)                                        // 000000009D48: BF8C4F76
	s_barrier                                                  // 000000009D4C: BF8A0000
	v_mfma_f32_16x16x32_fp8_fp8 v[132:135], a[168:169], a[0:1], v[132:135]// 000000009D50: D3F30084 1E1201A8
	buffer_load_dwordx4 a[160:163], v90, s[84:87], 0 offen     // 000000009D58: E05C1000 8095A05A
	v_mfma_f32_16x16x32_fp8_fp8 v[132:135], a[170:171], a[2:3], v[132:135]// 000000009D60: D3F30084 1E1205AA
	v_mfma_f32_16x16x32_fp8_fp8 v[132:135], a[172:173], a[4:5], v[132:135]// 000000009D68: D3F30084 1E1209AC
	ds_read_b128 a[80:83], v2 offset:20608                     // 000000009D70: DBFE5080 50000002
	ds_read_b128 a[84:87], v2 offset:20672                     // 000000009D78: DBFE50C0 54000002
	v_mfma_f32_16x16x32_fp8_fp8 v[132:135], a[174:175], a[6:7], v[132:135]// 000000009D80: D3F30084 1E120DAE
	v_mfma_f32_16x16x32_fp8_fp8 v[136:139], a[168:169], a[8:9], v[136:139]// 000000009D88: D3F30088 1E2211A8
	buffer_load_dwordx4 a[164:167], v90, s[84:87], 0 offen offset:1024// 000000009D90: E05C1400 8095A45A
	v_mfma_f32_16x16x32_fp8_fp8 v[136:139], a[170:171], a[10:11], v[136:139]// 000000009D98: D3F30088 1E2215AA
	v_mfma_f32_16x16x32_fp8_fp8 v[136:139], a[172:173], a[12:13], v[136:139]// 000000009DA0: D3F30088 1E2219AC
	ds_read_b128 a[88:91], v2 offset:21120                     // 000000009DA8: DBFE5280 58000002
	ds_read_b128 a[92:95], v2 offset:21184                     // 000000009DB0: DBFE52C0 5C000002
	v_mfma_f32_16x16x32_fp8_fp8 v[136:139], a[174:175], a[14:15], v[136:139]// 000000009DB8: D3F30088 1E221DAE
	v_mfma_f32_16x16x32_fp8_fp8 v[140:143], a[168:169], a[16:17], v[140:143]// 000000009DC0: D3F3008C 1E3221A8
	v_mfma_f32_16x16x32_fp8_fp8 v[140:143], a[170:171], a[18:19], v[140:143]// 000000009DC8: D3F3008C 1E3225AA
	v_mfma_f32_16x16x32_fp8_fp8 v[140:143], a[172:173], a[20:21], v[140:143]// 000000009DD0: D3F3008C 1E3229AC
	ds_read_b128 a[96:99], v2 offset:21632                     // 000000009DD8: DBFE5480 60000002
	ds_read_b128 a[100:103], v2 offset:21696                   // 000000009DE0: DBFE54C0 64000002
	v_mfma_f32_16x16x32_fp8_fp8 v[140:143], a[174:175], a[22:23], v[140:143]// 000000009DE8: D3F3008C 1E322DAE
	v_mfma_f32_16x16x32_fp8_fp8 v[144:147], a[168:169], a[24:25], v[144:147]// 000000009DF0: D3F30090 1E4231A8
	v_mfma_f32_16x16x32_fp8_fp8 v[144:147], a[170:171], a[26:27], v[144:147]// 000000009DF8: D3F30090 1E4235AA
	v_mfma_f32_16x16x32_fp8_fp8 v[144:147], a[172:173], a[28:29], v[144:147]// 000000009E00: D3F30090 1E4239AC
	ds_read_b128 a[104:107], v2 offset:22144                   // 000000009E08: DBFE5680 68000002
	ds_read_b128 a[108:111], v2 offset:22208                   // 000000009E10: DBFE56C0 6C000002
	v_mfma_f32_16x16x32_fp8_fp8 v[144:147], a[174:175], a[30:31], v[144:147]// 000000009E18: D3F30090 1E423DAE
	v_mfma_f32_16x16x32_fp8_fp8 v[148:151], a[168:169], a[32:33], v[148:151]// 000000009E20: D3F30094 1E5241A8
	v_mfma_f32_16x16x32_fp8_fp8 v[148:151], a[170:171], a[34:35], v[148:151]// 000000009E28: D3F30094 1E5245AA
	v_mfma_f32_16x16x32_fp8_fp8 v[148:151], a[172:173], a[36:37], v[148:151]// 000000009E30: D3F30094 1E5249AC
	ds_read_b128 a[112:115], v2 offset:22656                   // 000000009E38: DBFE5880 70000002
	ds_read_b128 a[116:119], v2 offset:22720                   // 000000009E40: DBFE58C0 74000002
	v_mfma_f32_16x16x32_fp8_fp8 v[148:151], a[174:175], a[38:39], v[148:151]// 000000009E48: D3F30094 1E524DAE
	v_mfma_f32_16x16x32_fp8_fp8 v[152:155], a[168:169], a[40:41], v[152:155]// 000000009E50: D3F30098 1E6251A8
	v_mfma_f32_16x16x32_fp8_fp8 v[152:155], a[170:171], a[42:43], v[152:155]// 000000009E58: D3F30098 1E6255AA
	v_mfma_f32_16x16x32_fp8_fp8 v[152:155], a[172:173], a[44:45], v[152:155]// 000000009E60: D3F30098 1E6259AC
	ds_read_b128 a[120:123], v2 offset:23168                   // 000000009E68: DBFE5A80 78000002
	ds_read_b128 a[124:127], v2 offset:23232                   // 000000009E70: DBFE5AC0 7C000002
	v_mfma_f32_16x16x32_fp8_fp8 v[152:155], a[174:175], a[46:47], v[152:155]// 000000009E78: D3F30098 1E625DAE
	v_mfma_f32_16x16x32_fp8_fp8 v[156:159], a[168:169], a[48:49], v[156:159]// 000000009E80: D3F3009C 1E7261A8
	v_mfma_f32_16x16x32_fp8_fp8 v[156:159], a[170:171], a[50:51], v[156:159]// 000000009E88: D3F3009C 1E7265AA
	v_mfma_f32_16x16x32_fp8_fp8 v[156:159], a[172:173], a[52:53], v[156:159]// 000000009E90: D3F3009C 1E7269AC
	ds_read_b128 a[128:131], v2 offset:23680                   // 000000009E98: DBFE5C80 80000002
	ds_read_b128 a[132:135], v2 offset:23744                   // 000000009EA0: DBFE5CC0 84000002
	v_mfma_f32_16x16x32_fp8_fp8 v[156:159], a[174:175], a[54:55], v[156:159]// 000000009EA8: D3F3009C 1E726DAE
	v_mfma_f32_16x16x32_fp8_fp8 v[160:163], a[168:169], a[56:57], v[160:163]// 000000009EB0: D3F300A0 1E8271A8
	v_mfma_f32_16x16x32_fp8_fp8 v[160:163], a[170:171], a[58:59], v[160:163]// 000000009EB8: D3F300A0 1E8275AA
	v_mfma_f32_16x16x32_fp8_fp8 v[160:163], a[172:173], a[60:61], v[160:163]// 000000009EC0: D3F300A0 1E8279AC
	ds_read_b128 a[136:139], v2 offset:24192                   // 000000009EC8: DBFE5E80 88000002
	ds_read_b128 a[140:143], v2 offset:24256                   // 000000009ED0: DBFE5EC0 8C000002
	v_mfma_f32_16x16x32_fp8_fp8 v[160:163], a[174:175], a[62:63], v[160:163]// 000000009ED8: D3F300A0 1E827DAE
	v_mfma_f32_16x16x32_fp8_fp8 v[164:167], a[168:169], a[64:65], v[164:167]// 000000009EE0: D3F300A4 1E9281A8
	s_add_u32 s60, 0x180, s80                                  // 000000009EE8: 803C50FF 00000180
	s_cmp_lt_u32 s60, s81                                      // 000000009EF0: BF0A513C
	s_cselect_b32 s57, s57, 0                                  // 000000009EF4: 85398039
	v_mfma_f32_16x16x32_fp8_fp8 v[164:167], a[170:171], a[66:67], v[164:167]// 000000009EF8: D3F300A4 1E9285AA
	s_add_u32 s60, 0x100, s80                                  // 000000009F00: 803C50FF 00000100
	s_cmp_lt_u32 s60, s81                                      // 000000009F08: BF0A513C
	s_cselect_b32 s58, s58, 0                                  // 000000009F0C: 853A803A
	v_mfma_f32_16x16x32_fp8_fp8 v[164:167], a[172:173], a[68:69], v[164:167]// 000000009F10: D3F300A4 1E9289AC
	ds_read_b128 a[144:147], v2 offset:24704                   // 000000009F18: DBFE6080 90000002
	ds_read_b128 a[148:151], v2 offset:24768                   // 000000009F20: DBFE60C0 94000002
	s_add_u32 s60, 0x100, s80                                  // 000000009F28: 803C50FF 00000100
	s_cmp_lt_u32 s60, s81                                      // 000000009F30: BF0A513C
	s_cselect_b32 s83, s83, 0                                  // 000000009F34: 85538053
	v_mfma_f32_16x16x32_fp8_fp8 v[164:167], a[174:175], a[70:71], v[164:167]// 000000009F38: D3F300A4 1E928DAE
	s_add_u32 s24, s58, s24                                    // 000000009F40: 8018183A
	s_addc_u32 s25, 0, s25                                     // 000000009F44: 82191980
	v_mfma_f32_16x16x32_fp8_fp8 v[168:171], a[168:169], a[72:73], v[168:171]// 000000009F48: D3F300A8 1EA291A8
	s_add_u32 s20, s57, s20                                    // 000000009F50: 80141439
	s_addc_u32 s21, 0, s21                                     // 000000009F54: 82151580
	v_mfma_f32_16x16x32_fp8_fp8 v[168:171], a[170:171], a[74:75], v[168:171]// 000000009F58: D3F300A8 1EA295AA
	s_add_u32 s84, s83, s84                                    // 000000009F60: 80545453
	s_addc_u32 s85, 0, s85                                     // 000000009F64: 82555580
	v_mfma_f32_16x16x32_fp8_fp8 v[168:171], a[172:173], a[76:77], v[168:171]// 000000009F68: D3F300A8 1EA299AC
	ds_read_b128 a[152:155], v2 offset:25216                   // 000000009F70: DBFE6280 98000002
	ds_read_b128 a[156:159], v2 offset:25280                   // 000000009F78: DBFE62C0 9C000002
	v_mfma_f32_16x16x32_fp8_fp8 v[168:171], a[174:175], a[78:79], v[168:171]// 000000009F80: D3F300A8 1EA29DAE
	s_addk_i32 s80, 0x80                                       // 000000009F88: B7500080
	s_cmp_lt_i32 s80, s81                                      // 000000009F8C: BF045150
	s_cbranch_scc0 label_237C                                  // 000000009F90: BF840614
	s_waitcnt vmcnt(22) lgkmcnt(0)                             // 000000009F94: BF8C4076
	v_mfma_f32_16x16x32_fp8_fp8 v[92:95], a[176:177], a[80:81], v[92:95]// 000000009F98: D3F3005C 1D72A1B0
	buffer_load_dwordx4 a[168:171], v90, s[24:27], 0 offen     // 000000009FA0: E05C1000 8086A85A
	v_mfma_f32_16x16x32_fp8_fp8 v[92:95], a[178:179], a[82:83], v[92:95]// 000000009FA8: D3F3005C 1D72A5B2
	v_mfma_f32_16x16x32_fp8_fp8 v[92:95], a[180:181], a[84:85], v[92:95]// 000000009FB0: D3F3005C 1D72A9B4
	v_mfma_f32_16x16x32_fp8_fp8 v[92:95], a[182:183], a[86:87], v[92:95]// 000000009FB8: D3F3005C 1D72ADB6
	v_mfma_f32_16x16x32_fp8_fp8 v[96:99], a[176:177], a[88:89], v[96:99]// 000000009FC0: D3F30060 1D82B1B0
	buffer_load_dwordx4 a[172:175], v90, s[24:27], 0 offen offset:1024// 000000009FC8: E05C1400 8086AC5A
	buffer_load_dword v70, s[20:23], 0 offen lds               // 000000009FD0: E0511000 80050046
	s_add_u32 m0, 0x100, s48                                   // 000000009FD8: 807C30FF 00000100
	v_mfma_f32_16x16x32_fp8_fp8 v[96:99], a[178:179], a[90:91], v[96:99]// 000000009FE0: D3F30060 1D82B5B2
	v_mfma_f32_16x16x32_fp8_fp8 v[96:99], a[180:181], a[92:93], v[96:99]// 000000009FE8: D3F30060 1D82B9B4
	buffer_load_dword v71, s[20:23], 0 offen lds               // 000000009FF0: E0511000 80050047
	s_add_u32 m0, 0x200, s48                                   // 000000009FF8: 807C30FF 00000200
	v_mfma_f32_16x16x32_fp8_fp8 v[96:99], a[182:183], a[94:95], v[96:99]// 00000000A000: D3F30060 1D82BDB6
	v_mfma_f32_16x16x32_fp8_fp8 v[100:103], a[176:177], a[96:97], v[100:103]// 00000000A008: D3F30064 1D92C1B0
	buffer_load_dword v72, s[20:23], 0 offen lds               // 00000000A010: E0511000 80050048
	s_add_u32 m0, 0x300, s48                                   // 00000000A018: 807C30FF 00000300
	v_mfma_f32_16x16x32_fp8_fp8 v[100:103], a[178:179], a[98:99], v[100:103]// 00000000A020: D3F30064 1D92C5B2
	v_mfma_f32_16x16x32_fp8_fp8 v[100:103], a[180:181], a[100:101], v[100:103]// 00000000A028: D3F30064 1D92C9B4
	buffer_load_dword v73, s[20:23], 0 offen lds               // 00000000A030: E0511000 80050049
	s_add_u32 m0, 0x400, s48                                   // 00000000A038: 807C30FF 00000400
	v_mfma_f32_16x16x32_fp8_fp8 v[100:103], a[182:183], a[102:103], v[100:103]// 00000000A040: D3F30064 1D92CDB6
	v_mfma_f32_16x16x32_fp8_fp8 v[104:107], a[176:177], a[104:105], v[104:107]// 00000000A048: D3F30068 1DA2D1B0
	buffer_load_dword v74, s[20:23], 0 offen lds               // 00000000A050: E0511000 8005004A
	s_add_u32 m0, 0x500, s48                                   // 00000000A058: 807C30FF 00000500
	v_mfma_f32_16x16x32_fp8_fp8 v[104:107], a[178:179], a[106:107], v[104:107]// 00000000A060: D3F30068 1DA2D5B2
	v_mfma_f32_16x16x32_fp8_fp8 v[104:107], a[180:181], a[108:109], v[104:107]// 00000000A068: D3F30068 1DA2D9B4
	buffer_load_dword v75, s[20:23], 0 offen lds               // 00000000A070: E0511000 8005004B
	s_add_u32 m0, 0x600, s48                                   // 00000000A078: 807C30FF 00000600
	v_mfma_f32_16x16x32_fp8_fp8 v[104:107], a[182:183], a[110:111], v[104:107]// 00000000A080: D3F30068 1DA2DDB6
	v_mfma_f32_16x16x32_fp8_fp8 v[108:111], a[176:177], a[112:113], v[108:111]// 00000000A088: D3F3006C 1DB2E1B0
	buffer_load_dword v76, s[20:23], 0 offen lds               // 00000000A090: E0511000 8005004C
	s_add_u32 m0, 0x700, s48                                   // 00000000A098: 807C30FF 00000700
	v_mfma_f32_16x16x32_fp8_fp8 v[108:111], a[178:179], a[114:115], v[108:111]// 00000000A0A0: D3F3006C 1DB2E5B2
	v_mfma_f32_16x16x32_fp8_fp8 v[108:111], a[180:181], a[116:117], v[108:111]// 00000000A0A8: D3F3006C 1DB2E9B4
	buffer_load_dword v77, s[20:23], 0 offen lds               // 00000000A0B0: E0511000 8005004D
	s_add_u32 m0, 0x800, s48                                   // 00000000A0B8: 807C30FF 00000800
	v_mfma_f32_16x16x32_fp8_fp8 v[108:111], a[182:183], a[118:119], v[108:111]// 00000000A0C0: D3F3006C 1DB2EDB6
	v_mfma_f32_16x16x32_fp8_fp8 v[112:115], a[176:177], a[120:121], v[112:115]// 00000000A0C8: D3F30070 1DC2F1B0
	buffer_load_dword v78, s[20:23], 0 offen lds               // 00000000A0D0: E0511000 8005004E
	s_add_u32 m0, 0x900, s48                                   // 00000000A0D8: 807C30FF 00000900
	v_mfma_f32_16x16x32_fp8_fp8 v[112:115], a[178:179], a[122:123], v[112:115]// 00000000A0E0: D3F30070 1DC2F5B2
	v_mfma_f32_16x16x32_fp8_fp8 v[112:115], a[180:181], a[124:125], v[112:115]// 00000000A0E8: D3F30070 1DC2F9B4
	buffer_load_dword v79, s[20:23], 0 offen lds               // 00000000A0F0: E0511000 8005004F
	s_add_u32 m0, 0xa00, s48                                   // 00000000A0F8: 807C30FF 00000A00
	v_mfma_f32_16x16x32_fp8_fp8 v[112:115], a[182:183], a[126:127], v[112:115]// 00000000A100: D3F30070 1DC2FDB6
	v_mfma_f32_16x16x32_fp8_fp8 v[116:119], a[176:177], a[128:129], v[116:119]// 00000000A108: D3F30074 1DD301B0
	buffer_load_dword v80, s[20:23], 0 offen lds               // 00000000A110: E0511000 80050050
	s_add_u32 m0, 0xb00, s48                                   // 00000000A118: 807C30FF 00000B00
	v_mfma_f32_16x16x32_fp8_fp8 v[116:119], a[178:179], a[130:131], v[116:119]// 00000000A120: D3F30074 1DD305B2
	v_mfma_f32_16x16x32_fp8_fp8 v[116:119], a[180:181], a[132:133], v[116:119]// 00000000A128: D3F30074 1DD309B4
	buffer_load_dword v81, s[20:23], 0 offen lds               // 00000000A130: E0511000 80050051
	s_add_u32 m0, 0xc00, s48                                   // 00000000A138: 807C30FF 00000C00
	v_mfma_f32_16x16x32_fp8_fp8 v[116:119], a[182:183], a[134:135], v[116:119]// 00000000A140: D3F30074 1DD30DB6
	v_mfma_f32_16x16x32_fp8_fp8 v[120:123], a[176:177], a[136:137], v[120:123]// 00000000A148: D3F30078 1DE311B0
	buffer_load_dword v82, s[20:23], 0 offen lds               // 00000000A150: E0511000 80050052
	s_add_u32 m0, 0xd00, s48                                   // 00000000A158: 807C30FF 00000D00
	v_mfma_f32_16x16x32_fp8_fp8 v[120:123], a[178:179], a[138:139], v[120:123]// 00000000A160: D3F30078 1DE315B2
	v_mfma_f32_16x16x32_fp8_fp8 v[120:123], a[180:181], a[140:141], v[120:123]// 00000000A168: D3F30078 1DE319B4
	buffer_load_dword v83, s[20:23], 0 offen lds               // 00000000A170: E0511000 80050053
	s_add_u32 m0, 0xe00, s48                                   // 00000000A178: 807C30FF 00000E00
	v_mfma_f32_16x16x32_fp8_fp8 v[120:123], a[182:183], a[142:143], v[120:123]// 00000000A180: D3F30078 1DE31DB6
	v_mfma_f32_16x16x32_fp8_fp8 v[124:127], a[176:177], a[144:145], v[124:127]// 00000000A188: D3F3007C 1DF321B0
	buffer_load_dword v84, s[20:23], 0 offen lds               // 00000000A190: E0511000 80050054
	s_add_u32 m0, 0xf00, s48                                   // 00000000A198: 807C30FF 00000F00
	v_mfma_f32_16x16x32_fp8_fp8 v[124:127], a[178:179], a[146:147], v[124:127]// 00000000A1A0: D3F3007C 1DF325B2
	v_mfma_f32_16x16x32_fp8_fp8 v[124:127], a[180:181], a[148:149], v[124:127]// 00000000A1A8: D3F3007C 1DF329B4
	buffer_load_dword v85, s[20:23], 0 offen lds               // 00000000A1B0: E0511000 80050055
	s_add_u32 m0, 0x1000, s48                                  // 00000000A1B8: 807C30FF 00001000
	v_mfma_f32_16x16x32_fp8_fp8 v[124:127], a[182:183], a[150:151], v[124:127]// 00000000A1C0: D3F3007C 1DF32DB6
	v_mfma_f32_16x16x32_fp8_fp8 v[128:131], a[176:177], a[152:153], v[128:131]// 00000000A1C8: D3F30080 1E0331B0
	buffer_load_dword v86, s[20:23], 0 offen lds               // 00000000A1D0: E0511000 80050056
	s_add_u32 m0, 0x1100, s48                                  // 00000000A1D8: 807C30FF 00001100
	v_mfma_f32_16x16x32_fp8_fp8 v[128:131], a[178:179], a[154:155], v[128:131]// 00000000A1E0: D3F30080 1E0335B2
	v_mfma_f32_16x16x32_fp8_fp8 v[128:131], a[180:181], a[156:157], v[128:131]// 00000000A1E8: D3F30080 1E0339B4
	buffer_load_dword v87, s[20:23], 0 offen lds               // 00000000A1F0: E0511000 80050057
	s_add_u32 m0, 0x1200, s48                                  // 00000000A1F8: 807C30FF 00001200
	v_mfma_f32_16x16x32_fp8_fp8 v[128:131], a[182:183], a[158:159], v[128:131]// 00000000A200: D3F30080 1E033DB6
	buffer_load_dword v88, s[20:23], 0 offen lds               // 00000000A208: E0511000 80050058
	s_add_u32 m0, 0x1300, s48                                  // 00000000A210: 807C30FF 00001300
	buffer_load_dword v89, s[20:23], 0 offen lds               // 00000000A218: E0511000 80050059
	s_add_u32 m0, 0, s49                                       // 00000000A220: 807C3180
	s_waitcnt vmcnt(22)                                        // 00000000A224: BF8C4F76
	s_barrier                                                  // 00000000A228: BF8A0000
	v_mfma_f32_16x16x32_fp8_fp8 v[132:135], a[160:161], a[80:81], v[132:135]// 00000000A22C: D3F30084 1E12A1A0
	buffer_load_dwordx4 a[176:179], v90, s[84:87], 0 offen     // 00000000A234: E05C1000 8095B05A
	v_mfma_f32_16x16x32_fp8_fp8 v[132:135], a[162:163], a[82:83], v[132:135]// 00000000A23C: D3F30084 1E12A5A2
	v_mfma_f32_16x16x32_fp8_fp8 v[132:135], a[164:165], a[84:85], v[132:135]// 00000000A244: D3F30084 1E12A9A4
	ds_read_b128 a[0:3], v2 offset:41216                       // 00000000A24C: DBFEA100 00000002
	ds_read_b128 a[4:7], v2 offset:41280                       // 00000000A254: DBFEA140 04000002
	v_mfma_f32_16x16x32_fp8_fp8 v[132:135], a[166:167], a[86:87], v[132:135]// 00000000A25C: D3F30084 1E12ADA6
	v_mfma_f32_16x16x32_fp8_fp8 v[136:139], a[160:161], a[88:89], v[136:139]// 00000000A264: D3F30088 1E22B1A0
	buffer_load_dwordx4 a[180:183], v90, s[84:87], 0 offen offset:1024// 00000000A26C: E05C1400 8095B45A
	v_mfma_f32_16x16x32_fp8_fp8 v[136:139], a[162:163], a[90:91], v[136:139]// 00000000A274: D3F30088 1E22B5A2
	v_mfma_f32_16x16x32_fp8_fp8 v[136:139], a[164:165], a[92:93], v[136:139]// 00000000A27C: D3F30088 1E22B9A4
	ds_read_b128 a[8:11], v2 offset:41728                      // 00000000A284: DBFEA300 08000002
	ds_read_b128 a[12:15], v2 offset:41792                     // 00000000A28C: DBFEA340 0C000002
	v_mfma_f32_16x16x32_fp8_fp8 v[136:139], a[166:167], a[94:95], v[136:139]// 00000000A294: D3F30088 1E22BDA6
	v_mfma_f32_16x16x32_fp8_fp8 v[140:143], a[160:161], a[96:97], v[140:143]// 00000000A29C: D3F3008C 1E32C1A0
	v_mfma_f32_16x16x32_fp8_fp8 v[140:143], a[162:163], a[98:99], v[140:143]// 00000000A2A4: D3F3008C 1E32C5A2
	v_mfma_f32_16x16x32_fp8_fp8 v[140:143], a[164:165], a[100:101], v[140:143]// 00000000A2AC: D3F3008C 1E32C9A4
	ds_read_b128 a[16:19], v2 offset:42240                     // 00000000A2B4: DBFEA500 10000002
	ds_read_b128 a[20:23], v2 offset:42304                     // 00000000A2BC: DBFEA540 14000002
	v_mfma_f32_16x16x32_fp8_fp8 v[140:143], a[166:167], a[102:103], v[140:143]// 00000000A2C4: D3F3008C 1E32CDA6
	v_mfma_f32_16x16x32_fp8_fp8 v[144:147], a[160:161], a[104:105], v[144:147]// 00000000A2CC: D3F30090 1E42D1A0
	v_mfma_f32_16x16x32_fp8_fp8 v[144:147], a[162:163], a[106:107], v[144:147]// 00000000A2D4: D3F30090 1E42D5A2
	v_mfma_f32_16x16x32_fp8_fp8 v[144:147], a[164:165], a[108:109], v[144:147]// 00000000A2DC: D3F30090 1E42D9A4
	ds_read_b128 a[24:27], v2 offset:42752                     // 00000000A2E4: DBFEA700 18000002
	ds_read_b128 a[28:31], v2 offset:42816                     // 00000000A2EC: DBFEA740 1C000002
	v_mfma_f32_16x16x32_fp8_fp8 v[144:147], a[166:167], a[110:111], v[144:147]// 00000000A2F4: D3F30090 1E42DDA6
	v_mfma_f32_16x16x32_fp8_fp8 v[148:151], a[160:161], a[112:113], v[148:151]// 00000000A2FC: D3F30094 1E52E1A0
	v_mfma_f32_16x16x32_fp8_fp8 v[148:151], a[162:163], a[114:115], v[148:151]// 00000000A304: D3F30094 1E52E5A2
	v_mfma_f32_16x16x32_fp8_fp8 v[148:151], a[164:165], a[116:117], v[148:151]// 00000000A30C: D3F30094 1E52E9A4
	ds_read_b128 a[32:35], v2 offset:43264                     // 00000000A314: DBFEA900 20000002
	ds_read_b128 a[36:39], v2 offset:43328                     // 00000000A31C: DBFEA940 24000002
	v_mfma_f32_16x16x32_fp8_fp8 v[148:151], a[166:167], a[118:119], v[148:151]// 00000000A324: D3F30094 1E52EDA6
	v_mfma_f32_16x16x32_fp8_fp8 v[152:155], a[160:161], a[120:121], v[152:155]// 00000000A32C: D3F30098 1E62F1A0
	v_mfma_f32_16x16x32_fp8_fp8 v[152:155], a[162:163], a[122:123], v[152:155]// 00000000A334: D3F30098 1E62F5A2
	v_mfma_f32_16x16x32_fp8_fp8 v[152:155], a[164:165], a[124:125], v[152:155]// 00000000A33C: D3F30098 1E62F9A4
	ds_read_b128 a[40:43], v2 offset:43776                     // 00000000A344: DBFEAB00 28000002
	ds_read_b128 a[44:47], v2 offset:43840                     // 00000000A34C: DBFEAB40 2C000002
	v_mfma_f32_16x16x32_fp8_fp8 v[152:155], a[166:167], a[126:127], v[152:155]// 00000000A354: D3F30098 1E62FDA6
	v_mfma_f32_16x16x32_fp8_fp8 v[156:159], a[160:161], a[128:129], v[156:159]// 00000000A35C: D3F3009C 1E7301A0
	v_mfma_f32_16x16x32_fp8_fp8 v[156:159], a[162:163], a[130:131], v[156:159]// 00000000A364: D3F3009C 1E7305A2
	v_mfma_f32_16x16x32_fp8_fp8 v[156:159], a[164:165], a[132:133], v[156:159]// 00000000A36C: D3F3009C 1E7309A4
	ds_read_b128 a[48:51], v2 offset:44288                     // 00000000A374: DBFEAD00 30000002
	ds_read_b128 a[52:55], v2 offset:44352                     // 00000000A37C: DBFEAD40 34000002
	v_mfma_f32_16x16x32_fp8_fp8 v[156:159], a[166:167], a[134:135], v[156:159]// 00000000A384: D3F3009C 1E730DA6
	v_mfma_f32_16x16x32_fp8_fp8 v[160:163], a[160:161], a[136:137], v[160:163]// 00000000A38C: D3F300A0 1E8311A0
	v_mfma_f32_16x16x32_fp8_fp8 v[160:163], a[162:163], a[138:139], v[160:163]// 00000000A394: D3F300A0 1E8315A2
	v_mfma_f32_16x16x32_fp8_fp8 v[160:163], a[164:165], a[140:141], v[160:163]// 00000000A39C: D3F300A0 1E8319A4
	ds_read_b128 a[56:59], v2 offset:44800                     // 00000000A3A4: DBFEAF00 38000002
	ds_read_b128 a[60:63], v2 offset:44864                     // 00000000A3AC: DBFEAF40 3C000002
	v_mfma_f32_16x16x32_fp8_fp8 v[160:163], a[166:167], a[142:143], v[160:163]// 00000000A3B4: D3F300A0 1E831DA6
	v_mfma_f32_16x16x32_fp8_fp8 v[164:167], a[160:161], a[144:145], v[164:167]// 00000000A3BC: D3F300A4 1E9321A0
	s_add_u32 s60, 0x180, s80                                  // 00000000A3C4: 803C50FF 00000180
	s_cmp_lt_u32 s60, s81                                      // 00000000A3CC: BF0A513C
	s_cselect_b32 s57, s57, 0                                  // 00000000A3D0: 85398039
	v_mfma_f32_16x16x32_fp8_fp8 v[164:167], a[162:163], a[146:147], v[164:167]// 00000000A3D4: D3F300A4 1E9325A2
	s_add_u32 s60, 0x100, s80                                  // 00000000A3DC: 803C50FF 00000100
	s_cmp_lt_u32 s60, s81                                      // 00000000A3E4: BF0A513C
	s_cselect_b32 s58, s58, 0                                  // 00000000A3E8: 853A803A
	v_mfma_f32_16x16x32_fp8_fp8 v[164:167], a[164:165], a[148:149], v[164:167]// 00000000A3EC: D3F300A4 1E9329A4
	ds_read_b128 a[64:67], v2 offset:45312                     // 00000000A3F4: DBFEB100 40000002
	ds_read_b128 a[68:71], v2 offset:45376                     // 00000000A3FC: DBFEB140 44000002
	s_add_u32 s60, 0x100, s80                                  // 00000000A404: 803C50FF 00000100
	s_cmp_lt_u32 s60, s81                                      // 00000000A40C: BF0A513C
	s_cselect_b32 s83, s83, 0                                  // 00000000A410: 85538053
	v_mfma_f32_16x16x32_fp8_fp8 v[164:167], a[166:167], a[150:151], v[164:167]// 00000000A414: D3F300A4 1E932DA6
	s_add_u32 s24, s58, s24                                    // 00000000A41C: 8018183A
	s_addc_u32 s25, 0, s25                                     // 00000000A420: 82191980
	v_mfma_f32_16x16x32_fp8_fp8 v[168:171], a[160:161], a[152:153], v[168:171]// 00000000A424: D3F300A8 1EA331A0
	s_add_u32 s20, s57, s20                                    // 00000000A42C: 80141439
	s_addc_u32 s21, 0, s21                                     // 00000000A430: 82151580
	v_mfma_f32_16x16x32_fp8_fp8 v[168:171], a[162:163], a[154:155], v[168:171]// 00000000A434: D3F300A8 1EA335A2
	s_add_u32 s84, s83, s84                                    // 00000000A43C: 80545453
	s_addc_u32 s85, 0, s85                                     // 00000000A440: 82555580
	v_mfma_f32_16x16x32_fp8_fp8 v[168:171], a[164:165], a[156:157], v[168:171]// 00000000A444: D3F300A8 1EA339A4
	ds_read_b128 a[72:75], v2 offset:45824                     // 00000000A44C: DBFEB300 48000002
	ds_read_b128 a[76:79], v2 offset:45888                     // 00000000A454: DBFEB340 4C000002
	v_mfma_f32_16x16x32_fp8_fp8 v[168:171], a[166:167], a[158:159], v[168:171]// 00000000A45C: D3F300A8 1EA33DA6
	s_addk_i32 s80, 0x80                                       // 00000000A464: B7500080
	s_cmp_lt_i32 s80, s81                                      // 00000000A468: BF045150
	s_cbranch_scc0 label_237C                                  // 00000000A46C: BF8404DD
	s_waitcnt vmcnt(22) lgkmcnt(0)                             // 00000000A470: BF8C4076
	v_mfma_f32_16x16x32_fp8_fp8 v[92:95], a[168:169], a[0:1], v[92:95]// 00000000A474: D3F3005C 1D7201A8
	buffer_load_dwordx4 a[160:163], v90, s[24:27], 0 offen     // 00000000A47C: E05C1000 8086A05A
	v_mfma_f32_16x16x32_fp8_fp8 v[92:95], a[170:171], a[2:3], v[92:95]// 00000000A484: D3F3005C 1D7205AA
	v_mfma_f32_16x16x32_fp8_fp8 v[92:95], a[172:173], a[4:5], v[92:95]// 00000000A48C: D3F3005C 1D7209AC
	v_mfma_f32_16x16x32_fp8_fp8 v[92:95], a[174:175], a[6:7], v[92:95]// 00000000A494: D3F3005C 1D720DAE
	v_mfma_f32_16x16x32_fp8_fp8 v[96:99], a[168:169], a[8:9], v[96:99]// 00000000A49C: D3F30060 1D8211A8
	buffer_load_dwordx4 a[164:167], v90, s[24:27], 0 offen offset:1024// 00000000A4A4: E05C1400 8086A45A
	buffer_load_dword v70, s[20:23], 0 offen lds               // 00000000A4AC: E0511000 80050046
	s_add_u32 m0, 0x100, s49                                   // 00000000A4B4: 807C31FF 00000100
	v_mfma_f32_16x16x32_fp8_fp8 v[96:99], a[170:171], a[10:11], v[96:99]// 00000000A4BC: D3F30060 1D8215AA
	v_mfma_f32_16x16x32_fp8_fp8 v[96:99], a[172:173], a[12:13], v[96:99]// 00000000A4C4: D3F30060 1D8219AC
	buffer_load_dword v71, s[20:23], 0 offen lds               // 00000000A4CC: E0511000 80050047
	s_add_u32 m0, 0x200, s49                                   // 00000000A4D4: 807C31FF 00000200
	v_mfma_f32_16x16x32_fp8_fp8 v[96:99], a[174:175], a[14:15], v[96:99]// 00000000A4DC: D3F30060 1D821DAE
	v_mfma_f32_16x16x32_fp8_fp8 v[100:103], a[168:169], a[16:17], v[100:103]// 00000000A4E4: D3F30064 1D9221A8
	buffer_load_dword v72, s[20:23], 0 offen lds               // 00000000A4EC: E0511000 80050048
	s_add_u32 m0, 0x300, s49                                   // 00000000A4F4: 807C31FF 00000300
	v_mfma_f32_16x16x32_fp8_fp8 v[100:103], a[170:171], a[18:19], v[100:103]// 00000000A4FC: D3F30064 1D9225AA
	v_mfma_f32_16x16x32_fp8_fp8 v[100:103], a[172:173], a[20:21], v[100:103]// 00000000A504: D3F30064 1D9229AC
	buffer_load_dword v73, s[20:23], 0 offen lds               // 00000000A50C: E0511000 80050049
	s_add_u32 m0, 0x400, s49                                   // 00000000A514: 807C31FF 00000400
	v_mfma_f32_16x16x32_fp8_fp8 v[100:103], a[174:175], a[22:23], v[100:103]// 00000000A51C: D3F30064 1D922DAE
	v_mfma_f32_16x16x32_fp8_fp8 v[104:107], a[168:169], a[24:25], v[104:107]// 00000000A524: D3F30068 1DA231A8
	buffer_load_dword v74, s[20:23], 0 offen lds               // 00000000A52C: E0511000 8005004A
	s_add_u32 m0, 0x500, s49                                   // 00000000A534: 807C31FF 00000500
	v_mfma_f32_16x16x32_fp8_fp8 v[104:107], a[170:171], a[26:27], v[104:107]// 00000000A53C: D3F30068 1DA235AA
	v_mfma_f32_16x16x32_fp8_fp8 v[104:107], a[172:173], a[28:29], v[104:107]// 00000000A544: D3F30068 1DA239AC
	buffer_load_dword v75, s[20:23], 0 offen lds               // 00000000A54C: E0511000 8005004B
	s_add_u32 m0, 0x600, s49                                   // 00000000A554: 807C31FF 00000600
	v_mfma_f32_16x16x32_fp8_fp8 v[104:107], a[174:175], a[30:31], v[104:107]// 00000000A55C: D3F30068 1DA23DAE
	v_mfma_f32_16x16x32_fp8_fp8 v[108:111], a[168:169], a[32:33], v[108:111]// 00000000A564: D3F3006C 1DB241A8
	buffer_load_dword v76, s[20:23], 0 offen lds               // 00000000A56C: E0511000 8005004C
	s_add_u32 m0, 0x700, s49                                   // 00000000A574: 807C31FF 00000700
	v_mfma_f32_16x16x32_fp8_fp8 v[108:111], a[170:171], a[34:35], v[108:111]// 00000000A57C: D3F3006C 1DB245AA
	v_mfma_f32_16x16x32_fp8_fp8 v[108:111], a[172:173], a[36:37], v[108:111]// 00000000A584: D3F3006C 1DB249AC
	buffer_load_dword v77, s[20:23], 0 offen lds               // 00000000A58C: E0511000 8005004D
	s_add_u32 m0, 0x800, s49                                   // 00000000A594: 807C31FF 00000800
	v_mfma_f32_16x16x32_fp8_fp8 v[108:111], a[174:175], a[38:39], v[108:111]// 00000000A59C: D3F3006C 1DB24DAE
	v_mfma_f32_16x16x32_fp8_fp8 v[112:115], a[168:169], a[40:41], v[112:115]// 00000000A5A4: D3F30070 1DC251A8
	buffer_load_dword v78, s[20:23], 0 offen lds               // 00000000A5AC: E0511000 8005004E
	s_add_u32 m0, 0x900, s49                                   // 00000000A5B4: 807C31FF 00000900
	v_mfma_f32_16x16x32_fp8_fp8 v[112:115], a[170:171], a[42:43], v[112:115]// 00000000A5BC: D3F30070 1DC255AA
	v_mfma_f32_16x16x32_fp8_fp8 v[112:115], a[172:173], a[44:45], v[112:115]// 00000000A5C4: D3F30070 1DC259AC
	buffer_load_dword v79, s[20:23], 0 offen lds               // 00000000A5CC: E0511000 8005004F
	s_add_u32 m0, 0xa00, s49                                   // 00000000A5D4: 807C31FF 00000A00
	v_mfma_f32_16x16x32_fp8_fp8 v[112:115], a[174:175], a[46:47], v[112:115]// 00000000A5DC: D3F30070 1DC25DAE
	v_mfma_f32_16x16x32_fp8_fp8 v[116:119], a[168:169], a[48:49], v[116:119]// 00000000A5E4: D3F30074 1DD261A8
	buffer_load_dword v80, s[20:23], 0 offen lds               // 00000000A5EC: E0511000 80050050
	s_add_u32 m0, 0xb00, s49                                   // 00000000A5F4: 807C31FF 00000B00
	v_mfma_f32_16x16x32_fp8_fp8 v[116:119], a[170:171], a[50:51], v[116:119]// 00000000A5FC: D3F30074 1DD265AA
	v_mfma_f32_16x16x32_fp8_fp8 v[116:119], a[172:173], a[52:53], v[116:119]// 00000000A604: D3F30074 1DD269AC
	buffer_load_dword v81, s[20:23], 0 offen lds               // 00000000A60C: E0511000 80050051
	s_add_u32 m0, 0xc00, s49                                   // 00000000A614: 807C31FF 00000C00
	v_mfma_f32_16x16x32_fp8_fp8 v[116:119], a[174:175], a[54:55], v[116:119]// 00000000A61C: D3F30074 1DD26DAE
	v_mfma_f32_16x16x32_fp8_fp8 v[120:123], a[168:169], a[56:57], v[120:123]// 00000000A624: D3F30078 1DE271A8
	buffer_load_dword v82, s[20:23], 0 offen lds               // 00000000A62C: E0511000 80050052
	s_add_u32 m0, 0xd00, s49                                   // 00000000A634: 807C31FF 00000D00
	v_mfma_f32_16x16x32_fp8_fp8 v[120:123], a[170:171], a[58:59], v[120:123]// 00000000A63C: D3F30078 1DE275AA
	v_mfma_f32_16x16x32_fp8_fp8 v[120:123], a[172:173], a[60:61], v[120:123]// 00000000A644: D3F30078 1DE279AC
	buffer_load_dword v83, s[20:23], 0 offen lds               // 00000000A64C: E0511000 80050053
	s_add_u32 m0, 0xe00, s49                                   // 00000000A654: 807C31FF 00000E00
	v_mfma_f32_16x16x32_fp8_fp8 v[120:123], a[174:175], a[62:63], v[120:123]// 00000000A65C: D3F30078 1DE27DAE
	v_mfma_f32_16x16x32_fp8_fp8 v[124:127], a[168:169], a[64:65], v[124:127]// 00000000A664: D3F3007C 1DF281A8
	buffer_load_dword v84, s[20:23], 0 offen lds               // 00000000A66C: E0511000 80050054
	s_add_u32 m0, 0xf00, s49                                   // 00000000A674: 807C31FF 00000F00
	v_mfma_f32_16x16x32_fp8_fp8 v[124:127], a[170:171], a[66:67], v[124:127]// 00000000A67C: D3F3007C 1DF285AA
	v_mfma_f32_16x16x32_fp8_fp8 v[124:127], a[172:173], a[68:69], v[124:127]// 00000000A684: D3F3007C 1DF289AC
	buffer_load_dword v85, s[20:23], 0 offen lds               // 00000000A68C: E0511000 80050055
	s_add_u32 m0, 0x1000, s49                                  // 00000000A694: 807C31FF 00001000
	v_mfma_f32_16x16x32_fp8_fp8 v[124:127], a[174:175], a[70:71], v[124:127]// 00000000A69C: D3F3007C 1DF28DAE
	v_mfma_f32_16x16x32_fp8_fp8 v[128:131], a[168:169], a[72:73], v[128:131]// 00000000A6A4: D3F30080 1E0291A8
	buffer_load_dword v86, s[20:23], 0 offen lds               // 00000000A6AC: E0511000 80050056
	s_add_u32 m0, 0x1100, s49                                  // 00000000A6B4: 807C31FF 00001100
	v_mfma_f32_16x16x32_fp8_fp8 v[128:131], a[170:171], a[74:75], v[128:131]// 00000000A6BC: D3F30080 1E0295AA
	v_mfma_f32_16x16x32_fp8_fp8 v[128:131], a[172:173], a[76:77], v[128:131]// 00000000A6C4: D3F30080 1E0299AC
	buffer_load_dword v87, s[20:23], 0 offen lds               // 00000000A6CC: E0511000 80050057
	s_add_u32 m0, 0x1200, s49                                  // 00000000A6D4: 807C31FF 00001200
	v_mfma_f32_16x16x32_fp8_fp8 v[128:131], a[174:175], a[78:79], v[128:131]// 00000000A6DC: D3F30080 1E029DAE
	buffer_load_dword v88, s[20:23], 0 offen lds               // 00000000A6E4: E0511000 80050058
	s_add_u32 m0, 0x1300, s49                                  // 00000000A6EC: 807C31FF 00001300
	buffer_load_dword v89, s[20:23], 0 offen lds               // 00000000A6F4: E0511000 80050059
	s_add_u32 m0, 0, s50                                       // 00000000A6FC: 807C3280
	s_waitcnt vmcnt(22)                                        // 00000000A700: BF8C4F76
	s_barrier                                                  // 00000000A704: BF8A0000
	v_mfma_f32_16x16x32_fp8_fp8 v[132:135], a[176:177], a[0:1], v[132:135]// 00000000A708: D3F30084 1E1201B0
	buffer_load_dwordx4 a[168:171], v90, s[84:87], 0 offen     // 00000000A710: E05C1000 8095A85A
	v_mfma_f32_16x16x32_fp8_fp8 v[132:135], a[178:179], a[2:3], v[132:135]// 00000000A718: D3F30084 1E1205B2
	v_mfma_f32_16x16x32_fp8_fp8 v[132:135], a[180:181], a[4:5], v[132:135]// 00000000A720: D3F30084 1E1209B4
	ds_read_b128 a[80:83], v2                                  // 00000000A728: DBFE0000 50000002
	ds_read_b128 a[84:87], v2 offset:64                        // 00000000A730: DBFE0040 54000002
	v_mfma_f32_16x16x32_fp8_fp8 v[132:135], a[182:183], a[6:7], v[132:135]// 00000000A738: D3F30084 1E120DB6
	v_mfma_f32_16x16x32_fp8_fp8 v[136:139], a[176:177], a[8:9], v[136:139]// 00000000A740: D3F30088 1E2211B0
	buffer_load_dwordx4 a[172:175], v90, s[84:87], 0 offen offset:1024// 00000000A748: E05C1400 8095AC5A
	v_mfma_f32_16x16x32_fp8_fp8 v[136:139], a[178:179], a[10:11], v[136:139]// 00000000A750: D3F30088 1E2215B2
	v_mfma_f32_16x16x32_fp8_fp8 v[136:139], a[180:181], a[12:13], v[136:139]// 00000000A758: D3F30088 1E2219B4
	ds_read_b128 a[88:91], v2 offset:512                       // 00000000A760: DBFE0200 58000002
	ds_read_b128 a[92:95], v2 offset:576                       // 00000000A768: DBFE0240 5C000002
	v_mfma_f32_16x16x32_fp8_fp8 v[136:139], a[182:183], a[14:15], v[136:139]// 00000000A770: D3F30088 1E221DB6
	v_mfma_f32_16x16x32_fp8_fp8 v[140:143], a[176:177], a[16:17], v[140:143]// 00000000A778: D3F3008C 1E3221B0
	v_mfma_f32_16x16x32_fp8_fp8 v[140:143], a[178:179], a[18:19], v[140:143]// 00000000A780: D3F3008C 1E3225B2
	v_mfma_f32_16x16x32_fp8_fp8 v[140:143], a[180:181], a[20:21], v[140:143]// 00000000A788: D3F3008C 1E3229B4
	ds_read_b128 a[96:99], v2 offset:1024                      // 00000000A790: DBFE0400 60000002
	ds_read_b128 a[100:103], v2 offset:1088                    // 00000000A798: DBFE0440 64000002
	v_mfma_f32_16x16x32_fp8_fp8 v[140:143], a[182:183], a[22:23], v[140:143]// 00000000A7A0: D3F3008C 1E322DB6
	v_mfma_f32_16x16x32_fp8_fp8 v[144:147], a[176:177], a[24:25], v[144:147]// 00000000A7A8: D3F30090 1E4231B0
	v_mfma_f32_16x16x32_fp8_fp8 v[144:147], a[178:179], a[26:27], v[144:147]// 00000000A7B0: D3F30090 1E4235B2
	v_mfma_f32_16x16x32_fp8_fp8 v[144:147], a[180:181], a[28:29], v[144:147]// 00000000A7B8: D3F30090 1E4239B4
	ds_read_b128 a[104:107], v2 offset:1536                    // 00000000A7C0: DBFE0600 68000002
	ds_read_b128 a[108:111], v2 offset:1600                    // 00000000A7C8: DBFE0640 6C000002
	v_mfma_f32_16x16x32_fp8_fp8 v[144:147], a[182:183], a[30:31], v[144:147]// 00000000A7D0: D3F30090 1E423DB6
	v_mfma_f32_16x16x32_fp8_fp8 v[148:151], a[176:177], a[32:33], v[148:151]// 00000000A7D8: D3F30094 1E5241B0
	v_mfma_f32_16x16x32_fp8_fp8 v[148:151], a[178:179], a[34:35], v[148:151]// 00000000A7E0: D3F30094 1E5245B2
	v_mfma_f32_16x16x32_fp8_fp8 v[148:151], a[180:181], a[36:37], v[148:151]// 00000000A7E8: D3F30094 1E5249B4
	ds_read_b128 a[112:115], v2 offset:2048                    // 00000000A7F0: DBFE0800 70000002
	ds_read_b128 a[116:119], v2 offset:2112                    // 00000000A7F8: DBFE0840 74000002
	v_mfma_f32_16x16x32_fp8_fp8 v[148:151], a[182:183], a[38:39], v[148:151]// 00000000A800: D3F30094 1E524DB6
	v_mfma_f32_16x16x32_fp8_fp8 v[152:155], a[176:177], a[40:41], v[152:155]// 00000000A808: D3F30098 1E6251B0
	v_mfma_f32_16x16x32_fp8_fp8 v[152:155], a[178:179], a[42:43], v[152:155]// 00000000A810: D3F30098 1E6255B2
	v_mfma_f32_16x16x32_fp8_fp8 v[152:155], a[180:181], a[44:45], v[152:155]// 00000000A818: D3F30098 1E6259B4
	ds_read_b128 a[120:123], v2 offset:2560                    // 00000000A820: DBFE0A00 78000002
	ds_read_b128 a[124:127], v2 offset:2624                    // 00000000A828: DBFE0A40 7C000002
	v_mfma_f32_16x16x32_fp8_fp8 v[152:155], a[182:183], a[46:47], v[152:155]// 00000000A830: D3F30098 1E625DB6
	v_mfma_f32_16x16x32_fp8_fp8 v[156:159], a[176:177], a[48:49], v[156:159]// 00000000A838: D3F3009C 1E7261B0
	v_mfma_f32_16x16x32_fp8_fp8 v[156:159], a[178:179], a[50:51], v[156:159]// 00000000A840: D3F3009C 1E7265B2
	v_mfma_f32_16x16x32_fp8_fp8 v[156:159], a[180:181], a[52:53], v[156:159]// 00000000A848: D3F3009C 1E7269B4
	ds_read_b128 a[128:131], v2 offset:3072                    // 00000000A850: DBFE0C00 80000002
	ds_read_b128 a[132:135], v2 offset:3136                    // 00000000A858: DBFE0C40 84000002
	v_mfma_f32_16x16x32_fp8_fp8 v[156:159], a[182:183], a[54:55], v[156:159]// 00000000A860: D3F3009C 1E726DB6
	v_mfma_f32_16x16x32_fp8_fp8 v[160:163], a[176:177], a[56:57], v[160:163]// 00000000A868: D3F300A0 1E8271B0
	v_mfma_f32_16x16x32_fp8_fp8 v[160:163], a[178:179], a[58:59], v[160:163]// 00000000A870: D3F300A0 1E8275B2
	v_mfma_f32_16x16x32_fp8_fp8 v[160:163], a[180:181], a[60:61], v[160:163]// 00000000A878: D3F300A0 1E8279B4
	ds_read_b128 a[136:139], v2 offset:3584                    // 00000000A880: DBFE0E00 88000002
	ds_read_b128 a[140:143], v2 offset:3648                    // 00000000A888: DBFE0E40 8C000002
	v_mfma_f32_16x16x32_fp8_fp8 v[160:163], a[182:183], a[62:63], v[160:163]// 00000000A890: D3F300A0 1E827DB6
	v_mfma_f32_16x16x32_fp8_fp8 v[164:167], a[176:177], a[64:65], v[164:167]// 00000000A898: D3F300A4 1E9281B0
	s_add_u32 s60, 0x180, s80                                  // 00000000A8A0: 803C50FF 00000180
	s_cmp_lt_u32 s60, s81                                      // 00000000A8A8: BF0A513C
	s_cselect_b32 s57, s57, 0                                  // 00000000A8AC: 85398039
	v_mfma_f32_16x16x32_fp8_fp8 v[164:167], a[178:179], a[66:67], v[164:167]// 00000000A8B0: D3F300A4 1E9285B2
	s_add_u32 s60, 0x100, s80                                  // 00000000A8B8: 803C50FF 00000100
	s_cmp_lt_u32 s60, s81                                      // 00000000A8C0: BF0A513C
	s_cselect_b32 s58, s58, 0                                  // 00000000A8C4: 853A803A
	v_mfma_f32_16x16x32_fp8_fp8 v[164:167], a[180:181], a[68:69], v[164:167]// 00000000A8C8: D3F300A4 1E9289B4
	ds_read_b128 a[144:147], v2 offset:4096                    // 00000000A8D0: DBFE1000 90000002
	ds_read_b128 a[148:151], v2 offset:4160                    // 00000000A8D8: DBFE1040 94000002
	s_add_u32 s60, 0x100, s80                                  // 00000000A8E0: 803C50FF 00000100
	s_cmp_lt_u32 s60, s81                                      // 00000000A8E8: BF0A513C
	s_cselect_b32 s83, s83, 0                                  // 00000000A8EC: 85538053
	v_mfma_f32_16x16x32_fp8_fp8 v[164:167], a[182:183], a[70:71], v[164:167]// 00000000A8F0: D3F300A4 1E928DB6
	s_add_u32 s24, s58, s24                                    // 00000000A8F8: 8018183A
	s_addc_u32 s25, 0, s25                                     // 00000000A8FC: 82191980
	v_mfma_f32_16x16x32_fp8_fp8 v[168:171], a[176:177], a[72:73], v[168:171]// 00000000A900: D3F300A8 1EA291B0
	s_add_u32 s20, s57, s20                                    // 00000000A908: 80141439
	s_addc_u32 s21, 0, s21                                     // 00000000A90C: 82151580
	v_mfma_f32_16x16x32_fp8_fp8 v[168:171], a[178:179], a[74:75], v[168:171]// 00000000A910: D3F300A8 1EA295B2
	s_add_u32 s84, s83, s84                                    // 00000000A918: 80545453
	s_addc_u32 s85, 0, s85                                     // 00000000A91C: 82555580
	v_mfma_f32_16x16x32_fp8_fp8 v[168:171], a[180:181], a[76:77], v[168:171]// 00000000A920: D3F300A8 1EA299B4
	ds_read_b128 a[152:155], v2 offset:4608                    // 00000000A928: DBFE1200 98000002
	ds_read_b128 a[156:159], v2 offset:4672                    // 00000000A930: DBFE1240 9C000002
	v_mfma_f32_16x16x32_fp8_fp8 v[168:171], a[182:183], a[78:79], v[168:171]// 00000000A938: D3F300A8 1EA29DB6
	s_addk_i32 s80, 0x80                                       // 00000000A940: B7500080
	s_cmp_lt_i32 s80, s81                                      // 00000000A944: BF045150
	s_cbranch_scc0 label_237C                                  // 00000000A948: BF8403A6
	s_waitcnt vmcnt(22) lgkmcnt(0)                             // 00000000A94C: BF8C4076
	v_mfma_f32_16x16x32_fp8_fp8 v[92:95], a[160:161], a[80:81], v[92:95]// 00000000A950: D3F3005C 1D72A1A0
	buffer_load_dwordx4 a[176:179], v90, s[24:27], 0 offen     // 00000000A958: E05C1000 8086B05A
	v_mfma_f32_16x16x32_fp8_fp8 v[92:95], a[162:163], a[82:83], v[92:95]// 00000000A960: D3F3005C 1D72A5A2
	v_mfma_f32_16x16x32_fp8_fp8 v[92:95], a[164:165], a[84:85], v[92:95]// 00000000A968: D3F3005C 1D72A9A4
	v_mfma_f32_16x16x32_fp8_fp8 v[92:95], a[166:167], a[86:87], v[92:95]// 00000000A970: D3F3005C 1D72ADA6
	v_mfma_f32_16x16x32_fp8_fp8 v[96:99], a[160:161], a[88:89], v[96:99]// 00000000A978: D3F30060 1D82B1A0
	buffer_load_dwordx4 a[180:183], v90, s[24:27], 0 offen offset:1024// 00000000A980: E05C1400 8086B45A
	buffer_load_dword v70, s[20:23], 0 offen lds               // 00000000A988: E0511000 80050046
	s_add_u32 m0, 0x100, s50                                   // 00000000A990: 807C32FF 00000100
	v_mfma_f32_16x16x32_fp8_fp8 v[96:99], a[162:163], a[90:91], v[96:99]// 00000000A998: D3F30060 1D82B5A2
	v_mfma_f32_16x16x32_fp8_fp8 v[96:99], a[164:165], a[92:93], v[96:99]// 00000000A9A0: D3F30060 1D82B9A4
	buffer_load_dword v71, s[20:23], 0 offen lds               // 00000000A9A8: E0511000 80050047
	s_add_u32 m0, 0x200, s50                                   // 00000000A9B0: 807C32FF 00000200
	v_mfma_f32_16x16x32_fp8_fp8 v[96:99], a[166:167], a[94:95], v[96:99]// 00000000A9B8: D3F30060 1D82BDA6
	v_mfma_f32_16x16x32_fp8_fp8 v[100:103], a[160:161], a[96:97], v[100:103]// 00000000A9C0: D3F30064 1D92C1A0
	buffer_load_dword v72, s[20:23], 0 offen lds               // 00000000A9C8: E0511000 80050048
	s_add_u32 m0, 0x300, s50                                   // 00000000A9D0: 807C32FF 00000300
	v_mfma_f32_16x16x32_fp8_fp8 v[100:103], a[162:163], a[98:99], v[100:103]// 00000000A9D8: D3F30064 1D92C5A2
	v_mfma_f32_16x16x32_fp8_fp8 v[100:103], a[164:165], a[100:101], v[100:103]// 00000000A9E0: D3F30064 1D92C9A4
	buffer_load_dword v73, s[20:23], 0 offen lds               // 00000000A9E8: E0511000 80050049
	s_add_u32 m0, 0x400, s50                                   // 00000000A9F0: 807C32FF 00000400
	v_mfma_f32_16x16x32_fp8_fp8 v[100:103], a[166:167], a[102:103], v[100:103]// 00000000A9F8: D3F30064 1D92CDA6
	v_mfma_f32_16x16x32_fp8_fp8 v[104:107], a[160:161], a[104:105], v[104:107]// 00000000AA00: D3F30068 1DA2D1A0
	buffer_load_dword v74, s[20:23], 0 offen lds               // 00000000AA08: E0511000 8005004A
	s_add_u32 m0, 0x500, s50                                   // 00000000AA10: 807C32FF 00000500
	v_mfma_f32_16x16x32_fp8_fp8 v[104:107], a[162:163], a[106:107], v[104:107]// 00000000AA18: D3F30068 1DA2D5A2
	v_mfma_f32_16x16x32_fp8_fp8 v[104:107], a[164:165], a[108:109], v[104:107]// 00000000AA20: D3F30068 1DA2D9A4
	buffer_load_dword v75, s[20:23], 0 offen lds               // 00000000AA28: E0511000 8005004B
	s_add_u32 m0, 0x600, s50                                   // 00000000AA30: 807C32FF 00000600
	v_mfma_f32_16x16x32_fp8_fp8 v[104:107], a[166:167], a[110:111], v[104:107]// 00000000AA38: D3F30068 1DA2DDA6
	v_mfma_f32_16x16x32_fp8_fp8 v[108:111], a[160:161], a[112:113], v[108:111]// 00000000AA40: D3F3006C 1DB2E1A0
	buffer_load_dword v76, s[20:23], 0 offen lds               // 00000000AA48: E0511000 8005004C
	s_add_u32 m0, 0x700, s50                                   // 00000000AA50: 807C32FF 00000700
	v_mfma_f32_16x16x32_fp8_fp8 v[108:111], a[162:163], a[114:115], v[108:111]// 00000000AA58: D3F3006C 1DB2E5A2
	v_mfma_f32_16x16x32_fp8_fp8 v[108:111], a[164:165], a[116:117], v[108:111]// 00000000AA60: D3F3006C 1DB2E9A4
	buffer_load_dword v77, s[20:23], 0 offen lds               // 00000000AA68: E0511000 8005004D
	s_add_u32 m0, 0x800, s50                                   // 00000000AA70: 807C32FF 00000800
	v_mfma_f32_16x16x32_fp8_fp8 v[108:111], a[166:167], a[118:119], v[108:111]// 00000000AA78: D3F3006C 1DB2EDA6
	v_mfma_f32_16x16x32_fp8_fp8 v[112:115], a[160:161], a[120:121], v[112:115]// 00000000AA80: D3F30070 1DC2F1A0
	buffer_load_dword v78, s[20:23], 0 offen lds               // 00000000AA88: E0511000 8005004E
	s_add_u32 m0, 0x900, s50                                   // 00000000AA90: 807C32FF 00000900
	v_mfma_f32_16x16x32_fp8_fp8 v[112:115], a[162:163], a[122:123], v[112:115]// 00000000AA98: D3F30070 1DC2F5A2
	v_mfma_f32_16x16x32_fp8_fp8 v[112:115], a[164:165], a[124:125], v[112:115]// 00000000AAA0: D3F30070 1DC2F9A4
	buffer_load_dword v79, s[20:23], 0 offen lds               // 00000000AAA8: E0511000 8005004F
	s_add_u32 m0, 0xa00, s50                                   // 00000000AAB0: 807C32FF 00000A00
	v_mfma_f32_16x16x32_fp8_fp8 v[112:115], a[166:167], a[126:127], v[112:115]// 00000000AAB8: D3F30070 1DC2FDA6
	v_mfma_f32_16x16x32_fp8_fp8 v[116:119], a[160:161], a[128:129], v[116:119]// 00000000AAC0: D3F30074 1DD301A0
	buffer_load_dword v80, s[20:23], 0 offen lds               // 00000000AAC8: E0511000 80050050
	s_add_u32 m0, 0xb00, s50                                   // 00000000AAD0: 807C32FF 00000B00
	v_mfma_f32_16x16x32_fp8_fp8 v[116:119], a[162:163], a[130:131], v[116:119]// 00000000AAD8: D3F30074 1DD305A2
	v_mfma_f32_16x16x32_fp8_fp8 v[116:119], a[164:165], a[132:133], v[116:119]// 00000000AAE0: D3F30074 1DD309A4
	buffer_load_dword v81, s[20:23], 0 offen lds               // 00000000AAE8: E0511000 80050051
	s_add_u32 m0, 0xc00, s50                                   // 00000000AAF0: 807C32FF 00000C00
	v_mfma_f32_16x16x32_fp8_fp8 v[116:119], a[166:167], a[134:135], v[116:119]// 00000000AAF8: D3F30074 1DD30DA6
	v_mfma_f32_16x16x32_fp8_fp8 v[120:123], a[160:161], a[136:137], v[120:123]// 00000000AB00: D3F30078 1DE311A0
	buffer_load_dword v82, s[20:23], 0 offen lds               // 00000000AB08: E0511000 80050052
	s_add_u32 m0, 0xd00, s50                                   // 00000000AB10: 807C32FF 00000D00
	v_mfma_f32_16x16x32_fp8_fp8 v[120:123], a[162:163], a[138:139], v[120:123]// 00000000AB18: D3F30078 1DE315A2
	v_mfma_f32_16x16x32_fp8_fp8 v[120:123], a[164:165], a[140:141], v[120:123]// 00000000AB20: D3F30078 1DE319A4
	buffer_load_dword v83, s[20:23], 0 offen lds               // 00000000AB28: E0511000 80050053
	s_add_u32 m0, 0xe00, s50                                   // 00000000AB30: 807C32FF 00000E00
	v_mfma_f32_16x16x32_fp8_fp8 v[120:123], a[166:167], a[142:143], v[120:123]// 00000000AB38: D3F30078 1DE31DA6
	v_mfma_f32_16x16x32_fp8_fp8 v[124:127], a[160:161], a[144:145], v[124:127]// 00000000AB40: D3F3007C 1DF321A0
	buffer_load_dword v84, s[20:23], 0 offen lds               // 00000000AB48: E0511000 80050054
	s_add_u32 m0, 0xf00, s50                                   // 00000000AB50: 807C32FF 00000F00
	v_mfma_f32_16x16x32_fp8_fp8 v[124:127], a[162:163], a[146:147], v[124:127]// 00000000AB58: D3F3007C 1DF325A2
	v_mfma_f32_16x16x32_fp8_fp8 v[124:127], a[164:165], a[148:149], v[124:127]// 00000000AB60: D3F3007C 1DF329A4
	buffer_load_dword v85, s[20:23], 0 offen lds               // 00000000AB68: E0511000 80050055
	s_add_u32 m0, 0x1000, s50                                  // 00000000AB70: 807C32FF 00001000
	v_mfma_f32_16x16x32_fp8_fp8 v[124:127], a[166:167], a[150:151], v[124:127]// 00000000AB78: D3F3007C 1DF32DA6
	v_mfma_f32_16x16x32_fp8_fp8 v[128:131], a[160:161], a[152:153], v[128:131]// 00000000AB80: D3F30080 1E0331A0
	buffer_load_dword v86, s[20:23], 0 offen lds               // 00000000AB88: E0511000 80050056
	s_add_u32 m0, 0x1100, s50                                  // 00000000AB90: 807C32FF 00001100
	v_mfma_f32_16x16x32_fp8_fp8 v[128:131], a[162:163], a[154:155], v[128:131]// 00000000AB98: D3F30080 1E0335A2
	v_mfma_f32_16x16x32_fp8_fp8 v[128:131], a[164:165], a[156:157], v[128:131]// 00000000ABA0: D3F30080 1E0339A4
	buffer_load_dword v87, s[20:23], 0 offen lds               // 00000000ABA8: E0511000 80050057
	s_add_u32 m0, 0x1200, s50                                  // 00000000ABB0: 807C32FF 00001200
	v_mfma_f32_16x16x32_fp8_fp8 v[128:131], a[166:167], a[158:159], v[128:131]// 00000000ABB8: D3F30080 1E033DA6
	buffer_load_dword v88, s[20:23], 0 offen lds               // 00000000ABC0: E0511000 80050058
	s_add_u32 m0, 0x1300, s50                                  // 00000000ABC8: 807C32FF 00001300
	buffer_load_dword v89, s[20:23], 0 offen lds               // 00000000ABD0: E0511000 80050059
	s_add_u32 m0, 0, s48                                       // 00000000ABD8: 807C3080
	s_waitcnt vmcnt(22)                                        // 00000000ABDC: BF8C4F76
	s_barrier                                                  // 00000000ABE0: BF8A0000
	v_mfma_f32_16x16x32_fp8_fp8 v[132:135], a[168:169], a[80:81], v[132:135]// 00000000ABE4: D3F30084 1E12A1A8
	buffer_load_dwordx4 a[160:163], v90, s[84:87], 0 offen     // 00000000ABEC: E05C1000 8095A05A
	v_mfma_f32_16x16x32_fp8_fp8 v[132:135], a[170:171], a[82:83], v[132:135]// 00000000ABF4: D3F30084 1E12A5AA
	v_mfma_f32_16x16x32_fp8_fp8 v[132:135], a[172:173], a[84:85], v[132:135]// 00000000ABFC: D3F30084 1E12A9AC
	ds_read_b128 a[0:3], v2 offset:20608                       // 00000000AC04: DBFE5080 00000002
	ds_read_b128 a[4:7], v2 offset:20672                       // 00000000AC0C: DBFE50C0 04000002
	v_mfma_f32_16x16x32_fp8_fp8 v[132:135], a[174:175], a[86:87], v[132:135]// 00000000AC14: D3F30084 1E12ADAE
	v_mfma_f32_16x16x32_fp8_fp8 v[136:139], a[168:169], a[88:89], v[136:139]// 00000000AC1C: D3F30088 1E22B1A8
	buffer_load_dwordx4 a[164:167], v90, s[84:87], 0 offen offset:1024// 00000000AC24: E05C1400 8095A45A
	v_mfma_f32_16x16x32_fp8_fp8 v[136:139], a[170:171], a[90:91], v[136:139]// 00000000AC2C: D3F30088 1E22B5AA
	v_mfma_f32_16x16x32_fp8_fp8 v[136:139], a[172:173], a[92:93], v[136:139]// 00000000AC34: D3F30088 1E22B9AC
	ds_read_b128 a[8:11], v2 offset:21120                      // 00000000AC3C: DBFE5280 08000002
	ds_read_b128 a[12:15], v2 offset:21184                     // 00000000AC44: DBFE52C0 0C000002
	v_mfma_f32_16x16x32_fp8_fp8 v[136:139], a[174:175], a[94:95], v[136:139]// 00000000AC4C: D3F30088 1E22BDAE
	v_mfma_f32_16x16x32_fp8_fp8 v[140:143], a[168:169], a[96:97], v[140:143]// 00000000AC54: D3F3008C 1E32C1A8
	v_mfma_f32_16x16x32_fp8_fp8 v[140:143], a[170:171], a[98:99], v[140:143]// 00000000AC5C: D3F3008C 1E32C5AA
	v_mfma_f32_16x16x32_fp8_fp8 v[140:143], a[172:173], a[100:101], v[140:143]// 00000000AC64: D3F3008C 1E32C9AC
	ds_read_b128 a[16:19], v2 offset:21632                     // 00000000AC6C: DBFE5480 10000002
	ds_read_b128 a[20:23], v2 offset:21696                     // 00000000AC74: DBFE54C0 14000002
	v_mfma_f32_16x16x32_fp8_fp8 v[140:143], a[174:175], a[102:103], v[140:143]// 00000000AC7C: D3F3008C 1E32CDAE
	v_mfma_f32_16x16x32_fp8_fp8 v[144:147], a[168:169], a[104:105], v[144:147]// 00000000AC84: D3F30090 1E42D1A8
	v_mfma_f32_16x16x32_fp8_fp8 v[144:147], a[170:171], a[106:107], v[144:147]// 00000000AC8C: D3F30090 1E42D5AA
	v_mfma_f32_16x16x32_fp8_fp8 v[144:147], a[172:173], a[108:109], v[144:147]// 00000000AC94: D3F30090 1E42D9AC
	ds_read_b128 a[24:27], v2 offset:22144                     // 00000000AC9C: DBFE5680 18000002
	ds_read_b128 a[28:31], v2 offset:22208                     // 00000000ACA4: DBFE56C0 1C000002
	v_mfma_f32_16x16x32_fp8_fp8 v[144:147], a[174:175], a[110:111], v[144:147]// 00000000ACAC: D3F30090 1E42DDAE
	v_mfma_f32_16x16x32_fp8_fp8 v[148:151], a[168:169], a[112:113], v[148:151]// 00000000ACB4: D3F30094 1E52E1A8
	v_mfma_f32_16x16x32_fp8_fp8 v[148:151], a[170:171], a[114:115], v[148:151]// 00000000ACBC: D3F30094 1E52E5AA
	v_mfma_f32_16x16x32_fp8_fp8 v[148:151], a[172:173], a[116:117], v[148:151]// 00000000ACC4: D3F30094 1E52E9AC
	ds_read_b128 a[32:35], v2 offset:22656                     // 00000000ACCC: DBFE5880 20000002
	ds_read_b128 a[36:39], v2 offset:22720                     // 00000000ACD4: DBFE58C0 24000002
	v_mfma_f32_16x16x32_fp8_fp8 v[148:151], a[174:175], a[118:119], v[148:151]// 00000000ACDC: D3F30094 1E52EDAE
	v_mfma_f32_16x16x32_fp8_fp8 v[152:155], a[168:169], a[120:121], v[152:155]// 00000000ACE4: D3F30098 1E62F1A8
	v_mfma_f32_16x16x32_fp8_fp8 v[152:155], a[170:171], a[122:123], v[152:155]// 00000000ACEC: D3F30098 1E62F5AA
	v_mfma_f32_16x16x32_fp8_fp8 v[152:155], a[172:173], a[124:125], v[152:155]// 00000000ACF4: D3F30098 1E62F9AC
	ds_read_b128 a[40:43], v2 offset:23168                     // 00000000ACFC: DBFE5A80 28000002
	ds_read_b128 a[44:47], v2 offset:23232                     // 00000000AD04: DBFE5AC0 2C000002
	v_mfma_f32_16x16x32_fp8_fp8 v[152:155], a[174:175], a[126:127], v[152:155]// 00000000AD0C: D3F30098 1E62FDAE
	v_mfma_f32_16x16x32_fp8_fp8 v[156:159], a[168:169], a[128:129], v[156:159]// 00000000AD14: D3F3009C 1E7301A8
	v_mfma_f32_16x16x32_fp8_fp8 v[156:159], a[170:171], a[130:131], v[156:159]// 00000000AD1C: D3F3009C 1E7305AA
	v_mfma_f32_16x16x32_fp8_fp8 v[156:159], a[172:173], a[132:133], v[156:159]// 00000000AD24: D3F3009C 1E7309AC
	ds_read_b128 a[48:51], v2 offset:23680                     // 00000000AD2C: DBFE5C80 30000002
	ds_read_b128 a[52:55], v2 offset:23744                     // 00000000AD34: DBFE5CC0 34000002
	v_mfma_f32_16x16x32_fp8_fp8 v[156:159], a[174:175], a[134:135], v[156:159]// 00000000AD3C: D3F3009C 1E730DAE
	v_mfma_f32_16x16x32_fp8_fp8 v[160:163], a[168:169], a[136:137], v[160:163]// 00000000AD44: D3F300A0 1E8311A8
	v_mfma_f32_16x16x32_fp8_fp8 v[160:163], a[170:171], a[138:139], v[160:163]// 00000000AD4C: D3F300A0 1E8315AA
	v_mfma_f32_16x16x32_fp8_fp8 v[160:163], a[172:173], a[140:141], v[160:163]// 00000000AD54: D3F300A0 1E8319AC
	ds_read_b128 a[56:59], v2 offset:24192                     // 00000000AD5C: DBFE5E80 38000002
	ds_read_b128 a[60:63], v2 offset:24256                     // 00000000AD64: DBFE5EC0 3C000002
	v_mfma_f32_16x16x32_fp8_fp8 v[160:163], a[174:175], a[142:143], v[160:163]// 00000000AD6C: D3F300A0 1E831DAE
	v_mfma_f32_16x16x32_fp8_fp8 v[164:167], a[168:169], a[144:145], v[164:167]// 00000000AD74: D3F300A4 1E9321A8
	s_add_u32 s60, 0x180, s80                                  // 00000000AD7C: 803C50FF 00000180
	s_cmp_lt_u32 s60, s81                                      // 00000000AD84: BF0A513C
	s_cselect_b32 s57, s57, 0                                  // 00000000AD88: 85398039
	v_mfma_f32_16x16x32_fp8_fp8 v[164:167], a[170:171], a[146:147], v[164:167]// 00000000AD8C: D3F300A4 1E9325AA
	s_add_u32 s60, 0x100, s80                                  // 00000000AD94: 803C50FF 00000100
	s_cmp_lt_u32 s60, s81                                      // 00000000AD9C: BF0A513C
	s_cselect_b32 s58, s58, 0                                  // 00000000ADA0: 853A803A
	v_mfma_f32_16x16x32_fp8_fp8 v[164:167], a[172:173], a[148:149], v[164:167]// 00000000ADA4: D3F300A4 1E9329AC
	ds_read_b128 a[64:67], v2 offset:24704                     // 00000000ADAC: DBFE6080 40000002
	ds_read_b128 a[68:71], v2 offset:24768                     // 00000000ADB4: DBFE60C0 44000002
	s_add_u32 s60, 0x100, s80                                  // 00000000ADBC: 803C50FF 00000100
	s_cmp_lt_u32 s60, s81                                      // 00000000ADC4: BF0A513C
	s_cselect_b32 s83, s83, 0                                  // 00000000ADC8: 85538053
	v_mfma_f32_16x16x32_fp8_fp8 v[164:167], a[174:175], a[150:151], v[164:167]// 00000000ADCC: D3F300A4 1E932DAE
	s_add_u32 s24, s58, s24                                    // 00000000ADD4: 8018183A
	s_addc_u32 s25, 0, s25                                     // 00000000ADD8: 82191980
	v_mfma_f32_16x16x32_fp8_fp8 v[168:171], a[168:169], a[152:153], v[168:171]// 00000000ADDC: D3F300A8 1EA331A8
	s_add_u32 s20, s57, s20                                    // 00000000ADE4: 80141439
	s_addc_u32 s21, 0, s21                                     // 00000000ADE8: 82151580
	v_mfma_f32_16x16x32_fp8_fp8 v[168:171], a[170:171], a[154:155], v[168:171]// 00000000ADEC: D3F300A8 1EA335AA
	s_add_u32 s84, s83, s84                                    // 00000000ADF4: 80545453
	s_addc_u32 s85, 0, s85                                     // 00000000ADF8: 82555580
	v_mfma_f32_16x16x32_fp8_fp8 v[168:171], a[172:173], a[156:157], v[168:171]// 00000000ADFC: D3F300A8 1EA339AC
	ds_read_b128 a[72:75], v2 offset:25216                     // 00000000AE04: DBFE6280 48000002
	ds_read_b128 a[76:79], v2 offset:25280                     // 00000000AE0C: DBFE62C0 4C000002
	v_mfma_f32_16x16x32_fp8_fp8 v[168:171], a[174:175], a[158:159], v[168:171]// 00000000AE14: D3F300A8 1EA33DAE
	s_addk_i32 s80, 0x80                                       // 00000000AE1C: B7500080
	s_cmp_lt_i32 s80, s81                                      // 00000000AE20: BF045150
	s_cbranch_scc0 label_237C                                  // 00000000AE24: BF84026F
	s_waitcnt vmcnt(22) lgkmcnt(0)                             // 00000000AE28: BF8C4076
	v_mfma_f32_16x16x32_fp8_fp8 v[92:95], a[176:177], a[0:1], v[92:95]// 00000000AE2C: D3F3005C 1D7201B0
	buffer_load_dwordx4 a[168:171], v90, s[24:27], 0 offen     // 00000000AE34: E05C1000 8086A85A
	v_mfma_f32_16x16x32_fp8_fp8 v[92:95], a[178:179], a[2:3], v[92:95]// 00000000AE3C: D3F3005C 1D7205B2
	v_mfma_f32_16x16x32_fp8_fp8 v[92:95], a[180:181], a[4:5], v[92:95]// 00000000AE44: D3F3005C 1D7209B4
	v_mfma_f32_16x16x32_fp8_fp8 v[92:95], a[182:183], a[6:7], v[92:95]// 00000000AE4C: D3F3005C 1D720DB6
	v_mfma_f32_16x16x32_fp8_fp8 v[96:99], a[176:177], a[8:9], v[96:99]// 00000000AE54: D3F30060 1D8211B0
	buffer_load_dwordx4 a[172:175], v90, s[24:27], 0 offen offset:1024// 00000000AE5C: E05C1400 8086AC5A
	buffer_load_dword v70, s[20:23], 0 offen lds               // 00000000AE64: E0511000 80050046
	s_add_u32 m0, 0x100, s48                                   // 00000000AE6C: 807C30FF 00000100
	v_mfma_f32_16x16x32_fp8_fp8 v[96:99], a[178:179], a[10:11], v[96:99]// 00000000AE74: D3F30060 1D8215B2
	v_mfma_f32_16x16x32_fp8_fp8 v[96:99], a[180:181], a[12:13], v[96:99]// 00000000AE7C: D3F30060 1D8219B4
	buffer_load_dword v71, s[20:23], 0 offen lds               // 00000000AE84: E0511000 80050047
	s_add_u32 m0, 0x200, s48                                   // 00000000AE8C: 807C30FF 00000200
	v_mfma_f32_16x16x32_fp8_fp8 v[96:99], a[182:183], a[14:15], v[96:99]// 00000000AE94: D3F30060 1D821DB6
	v_mfma_f32_16x16x32_fp8_fp8 v[100:103], a[176:177], a[16:17], v[100:103]// 00000000AE9C: D3F30064 1D9221B0
	buffer_load_dword v72, s[20:23], 0 offen lds               // 00000000AEA4: E0511000 80050048
	s_add_u32 m0, 0x300, s48                                   // 00000000AEAC: 807C30FF 00000300
	v_mfma_f32_16x16x32_fp8_fp8 v[100:103], a[178:179], a[18:19], v[100:103]// 00000000AEB4: D3F30064 1D9225B2
	v_mfma_f32_16x16x32_fp8_fp8 v[100:103], a[180:181], a[20:21], v[100:103]// 00000000AEBC: D3F30064 1D9229B4
	buffer_load_dword v73, s[20:23], 0 offen lds               // 00000000AEC4: E0511000 80050049
	s_add_u32 m0, 0x400, s48                                   // 00000000AECC: 807C30FF 00000400
	v_mfma_f32_16x16x32_fp8_fp8 v[100:103], a[182:183], a[22:23], v[100:103]// 00000000AED4: D3F30064 1D922DB6
	v_mfma_f32_16x16x32_fp8_fp8 v[104:107], a[176:177], a[24:25], v[104:107]// 00000000AEDC: D3F30068 1DA231B0
	buffer_load_dword v74, s[20:23], 0 offen lds               // 00000000AEE4: E0511000 8005004A
	s_add_u32 m0, 0x500, s48                                   // 00000000AEEC: 807C30FF 00000500
	v_mfma_f32_16x16x32_fp8_fp8 v[104:107], a[178:179], a[26:27], v[104:107]// 00000000AEF4: D3F30068 1DA235B2
	v_mfma_f32_16x16x32_fp8_fp8 v[104:107], a[180:181], a[28:29], v[104:107]// 00000000AEFC: D3F30068 1DA239B4
	buffer_load_dword v75, s[20:23], 0 offen lds               // 00000000AF04: E0511000 8005004B
	s_add_u32 m0, 0x600, s48                                   // 00000000AF0C: 807C30FF 00000600
	v_mfma_f32_16x16x32_fp8_fp8 v[104:107], a[182:183], a[30:31], v[104:107]// 00000000AF14: D3F30068 1DA23DB6
	v_mfma_f32_16x16x32_fp8_fp8 v[108:111], a[176:177], a[32:33], v[108:111]// 00000000AF1C: D3F3006C 1DB241B0
	buffer_load_dword v76, s[20:23], 0 offen lds               // 00000000AF24: E0511000 8005004C
	s_add_u32 m0, 0x700, s48                                   // 00000000AF2C: 807C30FF 00000700
	v_mfma_f32_16x16x32_fp8_fp8 v[108:111], a[178:179], a[34:35], v[108:111]// 00000000AF34: D3F3006C 1DB245B2
	v_mfma_f32_16x16x32_fp8_fp8 v[108:111], a[180:181], a[36:37], v[108:111]// 00000000AF3C: D3F3006C 1DB249B4
	buffer_load_dword v77, s[20:23], 0 offen lds               // 00000000AF44: E0511000 8005004D
	s_add_u32 m0, 0x800, s48                                   // 00000000AF4C: 807C30FF 00000800
	v_mfma_f32_16x16x32_fp8_fp8 v[108:111], a[182:183], a[38:39], v[108:111]// 00000000AF54: D3F3006C 1DB24DB6
	v_mfma_f32_16x16x32_fp8_fp8 v[112:115], a[176:177], a[40:41], v[112:115]// 00000000AF5C: D3F30070 1DC251B0
	buffer_load_dword v78, s[20:23], 0 offen lds               // 00000000AF64: E0511000 8005004E
	s_add_u32 m0, 0x900, s48                                   // 00000000AF6C: 807C30FF 00000900
	v_mfma_f32_16x16x32_fp8_fp8 v[112:115], a[178:179], a[42:43], v[112:115]// 00000000AF74: D3F30070 1DC255B2
	v_mfma_f32_16x16x32_fp8_fp8 v[112:115], a[180:181], a[44:45], v[112:115]// 00000000AF7C: D3F30070 1DC259B4
	buffer_load_dword v79, s[20:23], 0 offen lds               // 00000000AF84: E0511000 8005004F
	s_add_u32 m0, 0xa00, s48                                   // 00000000AF8C: 807C30FF 00000A00
	v_mfma_f32_16x16x32_fp8_fp8 v[112:115], a[182:183], a[46:47], v[112:115]// 00000000AF94: D3F30070 1DC25DB6
	v_mfma_f32_16x16x32_fp8_fp8 v[116:119], a[176:177], a[48:49], v[116:119]// 00000000AF9C: D3F30074 1DD261B0
	buffer_load_dword v80, s[20:23], 0 offen lds               // 00000000AFA4: E0511000 80050050
	s_add_u32 m0, 0xb00, s48                                   // 00000000AFAC: 807C30FF 00000B00
	v_mfma_f32_16x16x32_fp8_fp8 v[116:119], a[178:179], a[50:51], v[116:119]// 00000000AFB4: D3F30074 1DD265B2
	v_mfma_f32_16x16x32_fp8_fp8 v[116:119], a[180:181], a[52:53], v[116:119]// 00000000AFBC: D3F30074 1DD269B4
	buffer_load_dword v81, s[20:23], 0 offen lds               // 00000000AFC4: E0511000 80050051
	s_add_u32 m0, 0xc00, s48                                   // 00000000AFCC: 807C30FF 00000C00
	v_mfma_f32_16x16x32_fp8_fp8 v[116:119], a[182:183], a[54:55], v[116:119]// 00000000AFD4: D3F30074 1DD26DB6
	v_mfma_f32_16x16x32_fp8_fp8 v[120:123], a[176:177], a[56:57], v[120:123]// 00000000AFDC: D3F30078 1DE271B0
	buffer_load_dword v82, s[20:23], 0 offen lds               // 00000000AFE4: E0511000 80050052
	s_add_u32 m0, 0xd00, s48                                   // 00000000AFEC: 807C30FF 00000D00
	v_mfma_f32_16x16x32_fp8_fp8 v[120:123], a[178:179], a[58:59], v[120:123]// 00000000AFF4: D3F30078 1DE275B2
	v_mfma_f32_16x16x32_fp8_fp8 v[120:123], a[180:181], a[60:61], v[120:123]// 00000000AFFC: D3F30078 1DE279B4
	buffer_load_dword v83, s[20:23], 0 offen lds               // 00000000B004: E0511000 80050053
	s_add_u32 m0, 0xe00, s48                                   // 00000000B00C: 807C30FF 00000E00
	v_mfma_f32_16x16x32_fp8_fp8 v[120:123], a[182:183], a[62:63], v[120:123]// 00000000B014: D3F30078 1DE27DB6
	v_mfma_f32_16x16x32_fp8_fp8 v[124:127], a[176:177], a[64:65], v[124:127]// 00000000B01C: D3F3007C 1DF281B0
	buffer_load_dword v84, s[20:23], 0 offen lds               // 00000000B024: E0511000 80050054
	s_add_u32 m0, 0xf00, s48                                   // 00000000B02C: 807C30FF 00000F00
	v_mfma_f32_16x16x32_fp8_fp8 v[124:127], a[178:179], a[66:67], v[124:127]// 00000000B034: D3F3007C 1DF285B2
	v_mfma_f32_16x16x32_fp8_fp8 v[124:127], a[180:181], a[68:69], v[124:127]// 00000000B03C: D3F3007C 1DF289B4
	buffer_load_dword v85, s[20:23], 0 offen lds               // 00000000B044: E0511000 80050055
	s_add_u32 m0, 0x1000, s48                                  // 00000000B04C: 807C30FF 00001000
	v_mfma_f32_16x16x32_fp8_fp8 v[124:127], a[182:183], a[70:71], v[124:127]// 00000000B054: D3F3007C 1DF28DB6
	v_mfma_f32_16x16x32_fp8_fp8 v[128:131], a[176:177], a[72:73], v[128:131]// 00000000B05C: D3F30080 1E0291B0
	buffer_load_dword v86, s[20:23], 0 offen lds               // 00000000B064: E0511000 80050056
	s_add_u32 m0, 0x1100, s48                                  // 00000000B06C: 807C30FF 00001100
	v_mfma_f32_16x16x32_fp8_fp8 v[128:131], a[178:179], a[74:75], v[128:131]// 00000000B074: D3F30080 1E0295B2
	v_mfma_f32_16x16x32_fp8_fp8 v[128:131], a[180:181], a[76:77], v[128:131]// 00000000B07C: D3F30080 1E0299B4
	buffer_load_dword v87, s[20:23], 0 offen lds               // 00000000B084: E0511000 80050057
	s_add_u32 m0, 0x1200, s48                                  // 00000000B08C: 807C30FF 00001200
	v_mfma_f32_16x16x32_fp8_fp8 v[128:131], a[182:183], a[78:79], v[128:131]// 00000000B094: D3F30080 1E029DB6
	buffer_load_dword v88, s[20:23], 0 offen lds               // 00000000B09C: E0511000 80050058
	s_add_u32 m0, 0x1300, s48                                  // 00000000B0A4: 807C30FF 00001300
	buffer_load_dword v89, s[20:23], 0 offen lds               // 00000000B0AC: E0511000 80050059
	s_add_u32 m0, 0, s49                                       // 00000000B0B4: 807C3180
	s_waitcnt vmcnt(22)                                        // 00000000B0B8: BF8C4F76
	s_barrier                                                  // 00000000B0BC: BF8A0000
	v_mfma_f32_16x16x32_fp8_fp8 v[132:135], a[160:161], a[0:1], v[132:135]// 00000000B0C0: D3F30084 1E1201A0
	buffer_load_dwordx4 a[176:179], v90, s[84:87], 0 offen     // 00000000B0C8: E05C1000 8095B05A
	v_mfma_f32_16x16x32_fp8_fp8 v[132:135], a[162:163], a[2:3], v[132:135]// 00000000B0D0: D3F30084 1E1205A2
	v_mfma_f32_16x16x32_fp8_fp8 v[132:135], a[164:165], a[4:5], v[132:135]// 00000000B0D8: D3F30084 1E1209A4
	ds_read_b128 a[80:83], v2 offset:41216                     // 00000000B0E0: DBFEA100 50000002
	ds_read_b128 a[84:87], v2 offset:41280                     // 00000000B0E8: DBFEA140 54000002
	v_mfma_f32_16x16x32_fp8_fp8 v[132:135], a[166:167], a[6:7], v[132:135]// 00000000B0F0: D3F30084 1E120DA6
	v_mfma_f32_16x16x32_fp8_fp8 v[136:139], a[160:161], a[8:9], v[136:139]// 00000000B0F8: D3F30088 1E2211A0
	buffer_load_dwordx4 a[180:183], v90, s[84:87], 0 offen offset:1024// 00000000B100: E05C1400 8095B45A
	v_mfma_f32_16x16x32_fp8_fp8 v[136:139], a[162:163], a[10:11], v[136:139]// 00000000B108: D3F30088 1E2215A2
	v_mfma_f32_16x16x32_fp8_fp8 v[136:139], a[164:165], a[12:13], v[136:139]// 00000000B110: D3F30088 1E2219A4
	ds_read_b128 a[88:91], v2 offset:41728                     // 00000000B118: DBFEA300 58000002
	ds_read_b128 a[92:95], v2 offset:41792                     // 00000000B120: DBFEA340 5C000002
	v_mfma_f32_16x16x32_fp8_fp8 v[136:139], a[166:167], a[14:15], v[136:139]// 00000000B128: D3F30088 1E221DA6
	v_mfma_f32_16x16x32_fp8_fp8 v[140:143], a[160:161], a[16:17], v[140:143]// 00000000B130: D3F3008C 1E3221A0
	v_mfma_f32_16x16x32_fp8_fp8 v[140:143], a[162:163], a[18:19], v[140:143]// 00000000B138: D3F3008C 1E3225A2
	v_mfma_f32_16x16x32_fp8_fp8 v[140:143], a[164:165], a[20:21], v[140:143]// 00000000B140: D3F3008C 1E3229A4
	ds_read_b128 a[96:99], v2 offset:42240                     // 00000000B148: DBFEA500 60000002
	ds_read_b128 a[100:103], v2 offset:42304                   // 00000000B150: DBFEA540 64000002
	v_mfma_f32_16x16x32_fp8_fp8 v[140:143], a[166:167], a[22:23], v[140:143]// 00000000B158: D3F3008C 1E322DA6
	v_mfma_f32_16x16x32_fp8_fp8 v[144:147], a[160:161], a[24:25], v[144:147]// 00000000B160: D3F30090 1E4231A0
	v_mfma_f32_16x16x32_fp8_fp8 v[144:147], a[162:163], a[26:27], v[144:147]// 00000000B168: D3F30090 1E4235A2
	v_mfma_f32_16x16x32_fp8_fp8 v[144:147], a[164:165], a[28:29], v[144:147]// 00000000B170: D3F30090 1E4239A4
	ds_read_b128 a[104:107], v2 offset:42752                   // 00000000B178: DBFEA700 68000002
	ds_read_b128 a[108:111], v2 offset:42816                   // 00000000B180: DBFEA740 6C000002
	v_mfma_f32_16x16x32_fp8_fp8 v[144:147], a[166:167], a[30:31], v[144:147]// 00000000B188: D3F30090 1E423DA6
	v_mfma_f32_16x16x32_fp8_fp8 v[148:151], a[160:161], a[32:33], v[148:151]// 00000000B190: D3F30094 1E5241A0
	v_mfma_f32_16x16x32_fp8_fp8 v[148:151], a[162:163], a[34:35], v[148:151]// 00000000B198: D3F30094 1E5245A2
	v_mfma_f32_16x16x32_fp8_fp8 v[148:151], a[164:165], a[36:37], v[148:151]// 00000000B1A0: D3F30094 1E5249A4
	ds_read_b128 a[112:115], v2 offset:43264                   // 00000000B1A8: DBFEA900 70000002
	ds_read_b128 a[116:119], v2 offset:43328                   // 00000000B1B0: DBFEA940 74000002
	v_mfma_f32_16x16x32_fp8_fp8 v[148:151], a[166:167], a[38:39], v[148:151]// 00000000B1B8: D3F30094 1E524DA6
	v_mfma_f32_16x16x32_fp8_fp8 v[152:155], a[160:161], a[40:41], v[152:155]// 00000000B1C0: D3F30098 1E6251A0
	v_mfma_f32_16x16x32_fp8_fp8 v[152:155], a[162:163], a[42:43], v[152:155]// 00000000B1C8: D3F30098 1E6255A2
	v_mfma_f32_16x16x32_fp8_fp8 v[152:155], a[164:165], a[44:45], v[152:155]// 00000000B1D0: D3F30098 1E6259A4
	ds_read_b128 a[120:123], v2 offset:43776                   // 00000000B1D8: DBFEAB00 78000002
	ds_read_b128 a[124:127], v2 offset:43840                   // 00000000B1E0: DBFEAB40 7C000002
	v_mfma_f32_16x16x32_fp8_fp8 v[152:155], a[166:167], a[46:47], v[152:155]// 00000000B1E8: D3F30098 1E625DA6
	v_mfma_f32_16x16x32_fp8_fp8 v[156:159], a[160:161], a[48:49], v[156:159]// 00000000B1F0: D3F3009C 1E7261A0
	v_mfma_f32_16x16x32_fp8_fp8 v[156:159], a[162:163], a[50:51], v[156:159]// 00000000B1F8: D3F3009C 1E7265A2
	v_mfma_f32_16x16x32_fp8_fp8 v[156:159], a[164:165], a[52:53], v[156:159]// 00000000B200: D3F3009C 1E7269A4
	ds_read_b128 a[128:131], v2 offset:44288                   // 00000000B208: DBFEAD00 80000002
	ds_read_b128 a[132:135], v2 offset:44352                   // 00000000B210: DBFEAD40 84000002
	v_mfma_f32_16x16x32_fp8_fp8 v[156:159], a[166:167], a[54:55], v[156:159]// 00000000B218: D3F3009C 1E726DA6
	v_mfma_f32_16x16x32_fp8_fp8 v[160:163], a[160:161], a[56:57], v[160:163]// 00000000B220: D3F300A0 1E8271A0
	v_mfma_f32_16x16x32_fp8_fp8 v[160:163], a[162:163], a[58:59], v[160:163]// 00000000B228: D3F300A0 1E8275A2
	v_mfma_f32_16x16x32_fp8_fp8 v[160:163], a[164:165], a[60:61], v[160:163]// 00000000B230: D3F300A0 1E8279A4
	ds_read_b128 a[136:139], v2 offset:44800                   // 00000000B238: DBFEAF00 88000002
	ds_read_b128 a[140:143], v2 offset:44864                   // 00000000B240: DBFEAF40 8C000002
	v_mfma_f32_16x16x32_fp8_fp8 v[160:163], a[166:167], a[62:63], v[160:163]// 00000000B248: D3F300A0 1E827DA6
	v_mfma_f32_16x16x32_fp8_fp8 v[164:167], a[160:161], a[64:65], v[164:167]// 00000000B250: D3F300A4 1E9281A0
	s_add_u32 s60, 0x180, s80                                  // 00000000B258: 803C50FF 00000180
	s_cmp_lt_u32 s60, s81                                      // 00000000B260: BF0A513C
	s_cselect_b32 s57, s57, 0                                  // 00000000B264: 85398039
	v_mfma_f32_16x16x32_fp8_fp8 v[164:167], a[162:163], a[66:67], v[164:167]// 00000000B268: D3F300A4 1E9285A2
	s_add_u32 s60, 0x100, s80                                  // 00000000B270: 803C50FF 00000100
	s_cmp_lt_u32 s60, s81                                      // 00000000B278: BF0A513C
	s_cselect_b32 s58, s58, 0                                  // 00000000B27C: 853A803A
	v_mfma_f32_16x16x32_fp8_fp8 v[164:167], a[164:165], a[68:69], v[164:167]// 00000000B280: D3F300A4 1E9289A4
	ds_read_b128 a[144:147], v2 offset:45312                   // 00000000B288: DBFEB100 90000002
	ds_read_b128 a[148:151], v2 offset:45376                   // 00000000B290: DBFEB140 94000002
	s_add_u32 s60, 0x100, s80                                  // 00000000B298: 803C50FF 00000100
	s_cmp_lt_u32 s60, s81                                      // 00000000B2A0: BF0A513C
	s_cselect_b32 s83, s83, 0                                  // 00000000B2A4: 85538053
	v_mfma_f32_16x16x32_fp8_fp8 v[164:167], a[166:167], a[70:71], v[164:167]// 00000000B2A8: D3F300A4 1E928DA6
	s_add_u32 s24, s58, s24                                    // 00000000B2B0: 8018183A
	s_addc_u32 s25, 0, s25                                     // 00000000B2B4: 82191980
	v_mfma_f32_16x16x32_fp8_fp8 v[168:171], a[160:161], a[72:73], v[168:171]// 00000000B2B8: D3F300A8 1EA291A0
	s_add_u32 s20, s57, s20                                    // 00000000B2C0: 80141439
	s_addc_u32 s21, 0, s21                                     // 00000000B2C4: 82151580
	v_mfma_f32_16x16x32_fp8_fp8 v[168:171], a[162:163], a[74:75], v[168:171]// 00000000B2C8: D3F300A8 1EA295A2
	s_add_u32 s84, s83, s84                                    // 00000000B2D0: 80545453
	s_addc_u32 s85, 0, s85                                     // 00000000B2D4: 82555580
	v_mfma_f32_16x16x32_fp8_fp8 v[168:171], a[164:165], a[76:77], v[168:171]// 00000000B2D8: D3F300A8 1EA299A4
	ds_read_b128 a[152:155], v2 offset:45824                   // 00000000B2E0: DBFEB300 98000002
	ds_read_b128 a[156:159], v2 offset:45888                   // 00000000B2E8: DBFEB340 9C000002
	v_mfma_f32_16x16x32_fp8_fp8 v[168:171], a[166:167], a[78:79], v[168:171]// 00000000B2F0: D3F300A8 1EA29DA6
	s_addk_i32 s80, 0x80                                       // 00000000B2F8: B7500080
	s_cmp_lt_i32 s80, s81                                      // 00000000B2FC: BF045150
	s_cbranch_scc0 label_237C                                  // 00000000B300: BF840138
	s_waitcnt vmcnt(22) lgkmcnt(0)                             // 00000000B304: BF8C4076
	v_mfma_f32_16x16x32_fp8_fp8 v[92:95], a[168:169], a[80:81], v[92:95]// 00000000B308: D3F3005C 1D72A1A8
	buffer_load_dwordx4 a[160:163], v90, s[24:27], 0 offen     // 00000000B310: E05C1000 8086A05A
	v_mfma_f32_16x16x32_fp8_fp8 v[92:95], a[170:171], a[82:83], v[92:95]// 00000000B318: D3F3005C 1D72A5AA
	v_mfma_f32_16x16x32_fp8_fp8 v[92:95], a[172:173], a[84:85], v[92:95]// 00000000B320: D3F3005C 1D72A9AC
	v_mfma_f32_16x16x32_fp8_fp8 v[92:95], a[174:175], a[86:87], v[92:95]// 00000000B328: D3F3005C 1D72ADAE
	v_mfma_f32_16x16x32_fp8_fp8 v[96:99], a[168:169], a[88:89], v[96:99]// 00000000B330: D3F30060 1D82B1A8
	buffer_load_dwordx4 a[164:167], v90, s[24:27], 0 offen offset:1024// 00000000B338: E05C1400 8086A45A
	buffer_load_dword v70, s[20:23], 0 offen lds               // 00000000B340: E0511000 80050046
	s_add_u32 m0, 0x100, s49                                   // 00000000B348: 807C31FF 00000100
	v_mfma_f32_16x16x32_fp8_fp8 v[96:99], a[170:171], a[90:91], v[96:99]// 00000000B350: D3F30060 1D82B5AA
	v_mfma_f32_16x16x32_fp8_fp8 v[96:99], a[172:173], a[92:93], v[96:99]// 00000000B358: D3F30060 1D82B9AC
	buffer_load_dword v71, s[20:23], 0 offen lds               // 00000000B360: E0511000 80050047
	s_add_u32 m0, 0x200, s49                                   // 00000000B368: 807C31FF 00000200
	v_mfma_f32_16x16x32_fp8_fp8 v[96:99], a[174:175], a[94:95], v[96:99]// 00000000B370: D3F30060 1D82BDAE
	v_mfma_f32_16x16x32_fp8_fp8 v[100:103], a[168:169], a[96:97], v[100:103]// 00000000B378: D3F30064 1D92C1A8
	buffer_load_dword v72, s[20:23], 0 offen lds               // 00000000B380: E0511000 80050048
	s_add_u32 m0, 0x300, s49                                   // 00000000B388: 807C31FF 00000300
	v_mfma_f32_16x16x32_fp8_fp8 v[100:103], a[170:171], a[98:99], v[100:103]// 00000000B390: D3F30064 1D92C5AA
	v_mfma_f32_16x16x32_fp8_fp8 v[100:103], a[172:173], a[100:101], v[100:103]// 00000000B398: D3F30064 1D92C9AC
	buffer_load_dword v73, s[20:23], 0 offen lds               // 00000000B3A0: E0511000 80050049
	s_add_u32 m0, 0x400, s49                                   // 00000000B3A8: 807C31FF 00000400
	v_mfma_f32_16x16x32_fp8_fp8 v[100:103], a[174:175], a[102:103], v[100:103]// 00000000B3B0: D3F30064 1D92CDAE
	v_mfma_f32_16x16x32_fp8_fp8 v[104:107], a[168:169], a[104:105], v[104:107]// 00000000B3B8: D3F30068 1DA2D1A8
	buffer_load_dword v74, s[20:23], 0 offen lds               // 00000000B3C0: E0511000 8005004A
	s_add_u32 m0, 0x500, s49                                   // 00000000B3C8: 807C31FF 00000500
	v_mfma_f32_16x16x32_fp8_fp8 v[104:107], a[170:171], a[106:107], v[104:107]// 00000000B3D0: D3F30068 1DA2D5AA
	v_mfma_f32_16x16x32_fp8_fp8 v[104:107], a[172:173], a[108:109], v[104:107]// 00000000B3D8: D3F30068 1DA2D9AC
	buffer_load_dword v75, s[20:23], 0 offen lds               // 00000000B3E0: E0511000 8005004B
	s_add_u32 m0, 0x600, s49                                   // 00000000B3E8: 807C31FF 00000600
	v_mfma_f32_16x16x32_fp8_fp8 v[104:107], a[174:175], a[110:111], v[104:107]// 00000000B3F0: D3F30068 1DA2DDAE
	v_mfma_f32_16x16x32_fp8_fp8 v[108:111], a[168:169], a[112:113], v[108:111]// 00000000B3F8: D3F3006C 1DB2E1A8
	buffer_load_dword v76, s[20:23], 0 offen lds               // 00000000B400: E0511000 8005004C
	s_add_u32 m0, 0x700, s49                                   // 00000000B408: 807C31FF 00000700
	v_mfma_f32_16x16x32_fp8_fp8 v[108:111], a[170:171], a[114:115], v[108:111]// 00000000B410: D3F3006C 1DB2E5AA
	v_mfma_f32_16x16x32_fp8_fp8 v[108:111], a[172:173], a[116:117], v[108:111]// 00000000B418: D3F3006C 1DB2E9AC
	buffer_load_dword v77, s[20:23], 0 offen lds               // 00000000B420: E0511000 8005004D
	s_add_u32 m0, 0x800, s49                                   // 00000000B428: 807C31FF 00000800
	v_mfma_f32_16x16x32_fp8_fp8 v[108:111], a[174:175], a[118:119], v[108:111]// 00000000B430: D3F3006C 1DB2EDAE
	v_mfma_f32_16x16x32_fp8_fp8 v[112:115], a[168:169], a[120:121], v[112:115]// 00000000B438: D3F30070 1DC2F1A8
	buffer_load_dword v78, s[20:23], 0 offen lds               // 00000000B440: E0511000 8005004E
	s_add_u32 m0, 0x900, s49                                   // 00000000B448: 807C31FF 00000900
	v_mfma_f32_16x16x32_fp8_fp8 v[112:115], a[170:171], a[122:123], v[112:115]// 00000000B450: D3F30070 1DC2F5AA
	v_mfma_f32_16x16x32_fp8_fp8 v[112:115], a[172:173], a[124:125], v[112:115]// 00000000B458: D3F30070 1DC2F9AC
	buffer_load_dword v79, s[20:23], 0 offen lds               // 00000000B460: E0511000 8005004F
	s_add_u32 m0, 0xa00, s49                                   // 00000000B468: 807C31FF 00000A00
	v_mfma_f32_16x16x32_fp8_fp8 v[112:115], a[174:175], a[126:127], v[112:115]// 00000000B470: D3F30070 1DC2FDAE
	v_mfma_f32_16x16x32_fp8_fp8 v[116:119], a[168:169], a[128:129], v[116:119]// 00000000B478: D3F30074 1DD301A8
	buffer_load_dword v80, s[20:23], 0 offen lds               // 00000000B480: E0511000 80050050
	s_add_u32 m0, 0xb00, s49                                   // 00000000B488: 807C31FF 00000B00
	v_mfma_f32_16x16x32_fp8_fp8 v[116:119], a[170:171], a[130:131], v[116:119]// 00000000B490: D3F30074 1DD305AA
	v_mfma_f32_16x16x32_fp8_fp8 v[116:119], a[172:173], a[132:133], v[116:119]// 00000000B498: D3F30074 1DD309AC
	buffer_load_dword v81, s[20:23], 0 offen lds               // 00000000B4A0: E0511000 80050051
	s_add_u32 m0, 0xc00, s49                                   // 00000000B4A8: 807C31FF 00000C00
	v_mfma_f32_16x16x32_fp8_fp8 v[116:119], a[174:175], a[134:135], v[116:119]// 00000000B4B0: D3F30074 1DD30DAE
	v_mfma_f32_16x16x32_fp8_fp8 v[120:123], a[168:169], a[136:137], v[120:123]// 00000000B4B8: D3F30078 1DE311A8
	buffer_load_dword v82, s[20:23], 0 offen lds               // 00000000B4C0: E0511000 80050052
	s_add_u32 m0, 0xd00, s49                                   // 00000000B4C8: 807C31FF 00000D00
	v_mfma_f32_16x16x32_fp8_fp8 v[120:123], a[170:171], a[138:139], v[120:123]// 00000000B4D0: D3F30078 1DE315AA
	v_mfma_f32_16x16x32_fp8_fp8 v[120:123], a[172:173], a[140:141], v[120:123]// 00000000B4D8: D3F30078 1DE319AC
	buffer_load_dword v83, s[20:23], 0 offen lds               // 00000000B4E0: E0511000 80050053
	s_add_u32 m0, 0xe00, s49                                   // 00000000B4E8: 807C31FF 00000E00
	v_mfma_f32_16x16x32_fp8_fp8 v[120:123], a[174:175], a[142:143], v[120:123]// 00000000B4F0: D3F30078 1DE31DAE
	v_mfma_f32_16x16x32_fp8_fp8 v[124:127], a[168:169], a[144:145], v[124:127]// 00000000B4F8: D3F3007C 1DF321A8
	buffer_load_dword v84, s[20:23], 0 offen lds               // 00000000B500: E0511000 80050054
	s_add_u32 m0, 0xf00, s49                                   // 00000000B508: 807C31FF 00000F00
	v_mfma_f32_16x16x32_fp8_fp8 v[124:127], a[170:171], a[146:147], v[124:127]// 00000000B510: D3F3007C 1DF325AA
	v_mfma_f32_16x16x32_fp8_fp8 v[124:127], a[172:173], a[148:149], v[124:127]// 00000000B518: D3F3007C 1DF329AC
	buffer_load_dword v85, s[20:23], 0 offen lds               // 00000000B520: E0511000 80050055
	s_add_u32 m0, 0x1000, s49                                  // 00000000B528: 807C31FF 00001000
	v_mfma_f32_16x16x32_fp8_fp8 v[124:127], a[174:175], a[150:151], v[124:127]// 00000000B530: D3F3007C 1DF32DAE
	v_mfma_f32_16x16x32_fp8_fp8 v[128:131], a[168:169], a[152:153], v[128:131]// 00000000B538: D3F30080 1E0331A8
	buffer_load_dword v86, s[20:23], 0 offen lds               // 00000000B540: E0511000 80050056
	s_add_u32 m0, 0x1100, s49                                  // 00000000B548: 807C31FF 00001100
	v_mfma_f32_16x16x32_fp8_fp8 v[128:131], a[170:171], a[154:155], v[128:131]// 00000000B550: D3F30080 1E0335AA
	v_mfma_f32_16x16x32_fp8_fp8 v[128:131], a[172:173], a[156:157], v[128:131]// 00000000B558: D3F30080 1E0339AC
	buffer_load_dword v87, s[20:23], 0 offen lds               // 00000000B560: E0511000 80050057
	s_add_u32 m0, 0x1200, s49                                  // 00000000B568: 807C31FF 00001200
	v_mfma_f32_16x16x32_fp8_fp8 v[128:131], a[174:175], a[158:159], v[128:131]// 00000000B570: D3F30080 1E033DAE
	buffer_load_dword v88, s[20:23], 0 offen lds               // 00000000B578: E0511000 80050058
	s_add_u32 m0, 0x1300, s49                                  // 00000000B580: 807C31FF 00001300
	buffer_load_dword v89, s[20:23], 0 offen lds               // 00000000B588: E0511000 80050059
	s_add_u32 m0, 0, s50                                       // 00000000B590: 807C3280
	s_waitcnt vmcnt(22)                                        // 00000000B594: BF8C4F76
	s_barrier                                                  // 00000000B598: BF8A0000
	v_mfma_f32_16x16x32_fp8_fp8 v[132:135], a[176:177], a[80:81], v[132:135]// 00000000B59C: D3F30084 1E12A1B0
	buffer_load_dwordx4 a[168:171], v90, s[84:87], 0 offen     // 00000000B5A4: E05C1000 8095A85A
	v_mfma_f32_16x16x32_fp8_fp8 v[132:135], a[178:179], a[82:83], v[132:135]// 00000000B5AC: D3F30084 1E12A5B2
	v_mfma_f32_16x16x32_fp8_fp8 v[132:135], a[180:181], a[84:85], v[132:135]// 00000000B5B4: D3F30084 1E12A9B4
	ds_read_b128 a[0:3], v2                                    // 00000000B5BC: DBFE0000 00000002
	ds_read_b128 a[4:7], v2 offset:64                          // 00000000B5C4: DBFE0040 04000002
	v_mfma_f32_16x16x32_fp8_fp8 v[132:135], a[182:183], a[86:87], v[132:135]// 00000000B5CC: D3F30084 1E12ADB6
	v_mfma_f32_16x16x32_fp8_fp8 v[136:139], a[176:177], a[88:89], v[136:139]// 00000000B5D4: D3F30088 1E22B1B0
	buffer_load_dwordx4 a[172:175], v90, s[84:87], 0 offen offset:1024// 00000000B5DC: E05C1400 8095AC5A
	v_mfma_f32_16x16x32_fp8_fp8 v[136:139], a[178:179], a[90:91], v[136:139]// 00000000B5E4: D3F30088 1E22B5B2
	v_mfma_f32_16x16x32_fp8_fp8 v[136:139], a[180:181], a[92:93], v[136:139]// 00000000B5EC: D3F30088 1E22B9B4
	ds_read_b128 a[8:11], v2 offset:512                        // 00000000B5F4: DBFE0200 08000002
	ds_read_b128 a[12:15], v2 offset:576                       // 00000000B5FC: DBFE0240 0C000002
	v_mfma_f32_16x16x32_fp8_fp8 v[136:139], a[182:183], a[94:95], v[136:139]// 00000000B604: D3F30088 1E22BDB6
	v_mfma_f32_16x16x32_fp8_fp8 v[140:143], a[176:177], a[96:97], v[140:143]// 00000000B60C: D3F3008C 1E32C1B0
	v_mfma_f32_16x16x32_fp8_fp8 v[140:143], a[178:179], a[98:99], v[140:143]// 00000000B614: D3F3008C 1E32C5B2
	v_mfma_f32_16x16x32_fp8_fp8 v[140:143], a[180:181], a[100:101], v[140:143]// 00000000B61C: D3F3008C 1E32C9B4
	ds_read_b128 a[16:19], v2 offset:1024                      // 00000000B624: DBFE0400 10000002
	ds_read_b128 a[20:23], v2 offset:1088                      // 00000000B62C: DBFE0440 14000002
	v_mfma_f32_16x16x32_fp8_fp8 v[140:143], a[182:183], a[102:103], v[140:143]// 00000000B634: D3F3008C 1E32CDB6
	v_mfma_f32_16x16x32_fp8_fp8 v[144:147], a[176:177], a[104:105], v[144:147]// 00000000B63C: D3F30090 1E42D1B0
	v_mfma_f32_16x16x32_fp8_fp8 v[144:147], a[178:179], a[106:107], v[144:147]// 00000000B644: D3F30090 1E42D5B2
	v_mfma_f32_16x16x32_fp8_fp8 v[144:147], a[180:181], a[108:109], v[144:147]// 00000000B64C: D3F30090 1E42D9B4
	ds_read_b128 a[24:27], v2 offset:1536                      // 00000000B654: DBFE0600 18000002
	ds_read_b128 a[28:31], v2 offset:1600                      // 00000000B65C: DBFE0640 1C000002
	v_mfma_f32_16x16x32_fp8_fp8 v[144:147], a[182:183], a[110:111], v[144:147]// 00000000B664: D3F30090 1E42DDB6
	v_mfma_f32_16x16x32_fp8_fp8 v[148:151], a[176:177], a[112:113], v[148:151]// 00000000B66C: D3F30094 1E52E1B0
	v_mfma_f32_16x16x32_fp8_fp8 v[148:151], a[178:179], a[114:115], v[148:151]// 00000000B674: D3F30094 1E52E5B2
	v_mfma_f32_16x16x32_fp8_fp8 v[148:151], a[180:181], a[116:117], v[148:151]// 00000000B67C: D3F30094 1E52E9B4
	ds_read_b128 a[32:35], v2 offset:2048                      // 00000000B684: DBFE0800 20000002
	ds_read_b128 a[36:39], v2 offset:2112                      // 00000000B68C: DBFE0840 24000002
	v_mfma_f32_16x16x32_fp8_fp8 v[148:151], a[182:183], a[118:119], v[148:151]// 00000000B694: D3F30094 1E52EDB6
	v_mfma_f32_16x16x32_fp8_fp8 v[152:155], a[176:177], a[120:121], v[152:155]// 00000000B69C: D3F30098 1E62F1B0
	v_mfma_f32_16x16x32_fp8_fp8 v[152:155], a[178:179], a[122:123], v[152:155]// 00000000B6A4: D3F30098 1E62F5B2
	v_mfma_f32_16x16x32_fp8_fp8 v[152:155], a[180:181], a[124:125], v[152:155]// 00000000B6AC: D3F30098 1E62F9B4
	ds_read_b128 a[40:43], v2 offset:2560                      // 00000000B6B4: DBFE0A00 28000002
	ds_read_b128 a[44:47], v2 offset:2624                      // 00000000B6BC: DBFE0A40 2C000002
	v_mfma_f32_16x16x32_fp8_fp8 v[152:155], a[182:183], a[126:127], v[152:155]// 00000000B6C4: D3F30098 1E62FDB6
	v_mfma_f32_16x16x32_fp8_fp8 v[156:159], a[176:177], a[128:129], v[156:159]// 00000000B6CC: D3F3009C 1E7301B0
	v_mfma_f32_16x16x32_fp8_fp8 v[156:159], a[178:179], a[130:131], v[156:159]// 00000000B6D4: D3F3009C 1E7305B2
	v_mfma_f32_16x16x32_fp8_fp8 v[156:159], a[180:181], a[132:133], v[156:159]// 00000000B6DC: D3F3009C 1E7309B4
	ds_read_b128 a[48:51], v2 offset:3072                      // 00000000B6E4: DBFE0C00 30000002
	ds_read_b128 a[52:55], v2 offset:3136                      // 00000000B6EC: DBFE0C40 34000002
	v_mfma_f32_16x16x32_fp8_fp8 v[156:159], a[182:183], a[134:135], v[156:159]// 00000000B6F4: D3F3009C 1E730DB6
	v_mfma_f32_16x16x32_fp8_fp8 v[160:163], a[176:177], a[136:137], v[160:163]// 00000000B6FC: D3F300A0 1E8311B0
	v_mfma_f32_16x16x32_fp8_fp8 v[160:163], a[178:179], a[138:139], v[160:163]// 00000000B704: D3F300A0 1E8315B2
	v_mfma_f32_16x16x32_fp8_fp8 v[160:163], a[180:181], a[140:141], v[160:163]// 00000000B70C: D3F300A0 1E8319B4
	ds_read_b128 a[56:59], v2 offset:3584                      // 00000000B714: DBFE0E00 38000002
	ds_read_b128 a[60:63], v2 offset:3648                      // 00000000B71C: DBFE0E40 3C000002
	v_mfma_f32_16x16x32_fp8_fp8 v[160:163], a[182:183], a[142:143], v[160:163]// 00000000B724: D3F300A0 1E831DB6
	v_mfma_f32_16x16x32_fp8_fp8 v[164:167], a[176:177], a[144:145], v[164:167]// 00000000B72C: D3F300A4 1E9321B0
	s_add_u32 s60, 0x180, s80                                  // 00000000B734: 803C50FF 00000180
	s_cmp_lt_u32 s60, s81                                      // 00000000B73C: BF0A513C
	s_cselect_b32 s57, s57, 0                                  // 00000000B740: 85398039
	v_mfma_f32_16x16x32_fp8_fp8 v[164:167], a[178:179], a[146:147], v[164:167]// 00000000B744: D3F300A4 1E9325B2
	s_add_u32 s60, 0x100, s80                                  // 00000000B74C: 803C50FF 00000100
	s_cmp_lt_u32 s60, s81                                      // 00000000B754: BF0A513C
	s_cselect_b32 s58, s58, 0                                  // 00000000B758: 853A803A
	v_mfma_f32_16x16x32_fp8_fp8 v[164:167], a[180:181], a[148:149], v[164:167]// 00000000B75C: D3F300A4 1E9329B4
	ds_read_b128 a[64:67], v2 offset:4096                      // 00000000B764: DBFE1000 40000002
	ds_read_b128 a[68:71], v2 offset:4160                      // 00000000B76C: DBFE1040 44000002
	s_add_u32 s60, 0x100, s80                                  // 00000000B774: 803C50FF 00000100
	s_cmp_lt_u32 s60, s81                                      // 00000000B77C: BF0A513C
	s_cselect_b32 s83, s83, 0                                  // 00000000B780: 85538053
	v_mfma_f32_16x16x32_fp8_fp8 v[164:167], a[182:183], a[150:151], v[164:167]// 00000000B784: D3F300A4 1E932DB6
	s_add_u32 s24, s58, s24                                    // 00000000B78C: 8018183A
	s_addc_u32 s25, 0, s25                                     // 00000000B790: 82191980
	v_mfma_f32_16x16x32_fp8_fp8 v[168:171], a[176:177], a[152:153], v[168:171]// 00000000B794: D3F300A8 1EA331B0
	s_add_u32 s20, s57, s20                                    // 00000000B79C: 80141439
	s_addc_u32 s21, 0, s21                                     // 00000000B7A0: 82151580
	v_mfma_f32_16x16x32_fp8_fp8 v[168:171], a[178:179], a[154:155], v[168:171]// 00000000B7A4: D3F300A8 1EA335B2
	s_add_u32 s84, s83, s84                                    // 00000000B7AC: 80545453
	s_addc_u32 s85, 0, s85                                     // 00000000B7B0: 82555580
	v_mfma_f32_16x16x32_fp8_fp8 v[168:171], a[180:181], a[156:157], v[168:171]// 00000000B7B4: D3F300A8 1EA339B4
	ds_read_b128 a[72:75], v2 offset:4608                      // 00000000B7BC: DBFE1200 48000002
	ds_read_b128 a[76:79], v2 offset:4672                      // 00000000B7C4: DBFE1240 4C000002
	v_mfma_f32_16x16x32_fp8_fp8 v[168:171], a[182:183], a[158:159], v[168:171]// 00000000B7CC: D3F300A8 1EA33DB6
	s_addk_i32 s80, 0x80                                       // 00000000B7D4: B7500080
	s_cmp_lt_i32 s80, s81                                      // 00000000B7D8: BF045150
	s_cbranch_scc0 label_237C                                  // 00000000B7DC: BF840001
	s_branch label_1C31                                        // 00000000B7E0: BF82F8B5

000000000000b7e4 <label_237C>:
	v_mul_f32_dpp v92, v24, v92 row_newbcast:0 row_mask:0xf bank_mask:0xf// 00000000B7E4: 0AB8B8FA FF015018
	v_mul_f32_dpp v93, v24, v93 row_newbcast:1 row_mask:0xf bank_mask:0xf// 00000000B7EC: 0ABABAFA FF015118
	v_mul_f32_dpp v94, v24, v94 row_newbcast:2 row_mask:0xf bank_mask:0xf// 00000000B7F4: 0ABCBCFA FF015218
	v_mul_f32_dpp v95, v24, v95 row_newbcast:3 row_mask:0xf bank_mask:0xf// 00000000B7FC: 0ABEBEFA FF015318
	v_mul_f32_dpp v96, v24, v96 row_newbcast:0 row_mask:0xf bank_mask:0xf// 00000000B804: 0AC0C0FA FF015018
	v_mul_f32_dpp v97, v24, v97 row_newbcast:1 row_mask:0xf bank_mask:0xf// 00000000B80C: 0AC2C2FA FF015118
	v_mul_f32_dpp v98, v24, v98 row_newbcast:2 row_mask:0xf bank_mask:0xf// 00000000B814: 0AC4C4FA FF015218
	v_mul_f32_dpp v99, v24, v99 row_newbcast:3 row_mask:0xf bank_mask:0xf// 00000000B81C: 0AC6C6FA FF015318
	v_mul_f32_dpp v100, v24, v100 row_newbcast:0 row_mask:0xf bank_mask:0xf// 00000000B824: 0AC8C8FA FF015018
	v_mul_f32_dpp v101, v24, v101 row_newbcast:1 row_mask:0xf bank_mask:0xf// 00000000B82C: 0ACACAFA FF015118
	v_mul_f32_dpp v102, v24, v102 row_newbcast:2 row_mask:0xf bank_mask:0xf// 00000000B834: 0ACCCCFA FF015218
	v_mul_f32_dpp v103, v24, v103 row_newbcast:3 row_mask:0xf bank_mask:0xf// 00000000B83C: 0ACECEFA FF015318
	v_mul_f32_dpp v104, v24, v104 row_newbcast:0 row_mask:0xf bank_mask:0xf// 00000000B844: 0AD0D0FA FF015018
	v_mul_f32_dpp v105, v24, v105 row_newbcast:1 row_mask:0xf bank_mask:0xf// 00000000B84C: 0AD2D2FA FF015118
	v_mul_f32_dpp v106, v24, v106 row_newbcast:2 row_mask:0xf bank_mask:0xf// 00000000B854: 0AD4D4FA FF015218
	v_mul_f32_dpp v107, v24, v107 row_newbcast:3 row_mask:0xf bank_mask:0xf// 00000000B85C: 0AD6D6FA FF015318
	v_mul_f32_dpp v108, v24, v108 row_newbcast:0 row_mask:0xf bank_mask:0xf// 00000000B864: 0AD8D8FA FF015018
	v_mul_f32_dpp v109, v24, v109 row_newbcast:1 row_mask:0xf bank_mask:0xf// 00000000B86C: 0ADADAFA FF015118
	v_mul_f32_dpp v110, v24, v110 row_newbcast:2 row_mask:0xf bank_mask:0xf// 00000000B874: 0ADCDCFA FF015218
	v_mul_f32_dpp v111, v24, v111 row_newbcast:3 row_mask:0xf bank_mask:0xf// 00000000B87C: 0ADEDEFA FF015318
	v_mul_f32_dpp v112, v24, v112 row_newbcast:0 row_mask:0xf bank_mask:0xf// 00000000B884: 0AE0E0FA FF015018
	v_mul_f32_dpp v113, v24, v113 row_newbcast:1 row_mask:0xf bank_mask:0xf// 00000000B88C: 0AE2E2FA FF015118
	v_mul_f32_dpp v114, v24, v114 row_newbcast:2 row_mask:0xf bank_mask:0xf// 00000000B894: 0AE4E4FA FF015218
	v_mul_f32_dpp v115, v24, v115 row_newbcast:3 row_mask:0xf bank_mask:0xf// 00000000B89C: 0AE6E6FA FF015318
	v_mul_f32_dpp v116, v24, v116 row_newbcast:0 row_mask:0xf bank_mask:0xf// 00000000B8A4: 0AE8E8FA FF015018
	v_mul_f32_dpp v117, v24, v117 row_newbcast:1 row_mask:0xf bank_mask:0xf// 00000000B8AC: 0AEAEAFA FF015118
	v_mul_f32_dpp v118, v24, v118 row_newbcast:2 row_mask:0xf bank_mask:0xf// 00000000B8B4: 0AECECFA FF015218
	v_mul_f32_dpp v119, v24, v119 row_newbcast:3 row_mask:0xf bank_mask:0xf// 00000000B8BC: 0AEEEEFA FF015318
	v_mul_f32_dpp v120, v24, v120 row_newbcast:0 row_mask:0xf bank_mask:0xf// 00000000B8C4: 0AF0F0FA FF015018
	v_mul_f32_dpp v121, v24, v121 row_newbcast:1 row_mask:0xf bank_mask:0xf// 00000000B8CC: 0AF2F2FA FF015118
	v_mul_f32_dpp v122, v24, v122 row_newbcast:2 row_mask:0xf bank_mask:0xf// 00000000B8D4: 0AF4F4FA FF015218
	v_mul_f32_dpp v123, v24, v123 row_newbcast:3 row_mask:0xf bank_mask:0xf// 00000000B8DC: 0AF6F6FA FF015318
	v_mul_f32_dpp v124, v24, v124 row_newbcast:0 row_mask:0xf bank_mask:0xf// 00000000B8E4: 0AF8F8FA FF015018
	v_mul_f32_dpp v125, v24, v125 row_newbcast:1 row_mask:0xf bank_mask:0xf// 00000000B8EC: 0AFAFAFA FF015118
	v_mul_f32_dpp v126, v24, v126 row_newbcast:2 row_mask:0xf bank_mask:0xf// 00000000B8F4: 0AFCFCFA FF015218
	v_mul_f32_dpp v127, v24, v127 row_newbcast:3 row_mask:0xf bank_mask:0xf// 00000000B8FC: 0AFEFEFA FF015318
	v_mul_f32_dpp v128, v24, v128 row_newbcast:0 row_mask:0xf bank_mask:0xf// 00000000B904: 0B0100FA FF015018
	v_mul_f32_dpp v129, v24, v129 row_newbcast:1 row_mask:0xf bank_mask:0xf// 00000000B90C: 0B0302FA FF015118
	v_mul_f32_dpp v130, v24, v130 row_newbcast:2 row_mask:0xf bank_mask:0xf// 00000000B914: 0B0504FA FF015218
	v_mul_f32_dpp v131, v24, v131 row_newbcast:3 row_mask:0xf bank_mask:0xf// 00000000B91C: 0B0706FA FF015318
	v_mul_f32_dpp v132, v27, v132 row_newbcast:0 row_mask:0xf bank_mask:0xf// 00000000B924: 0B0908FA FF01501B
	v_mul_f32_dpp v133, v27, v133 row_newbcast:1 row_mask:0xf bank_mask:0xf// 00000000B92C: 0B0B0AFA FF01511B
	v_mul_f32_dpp v134, v27, v134 row_newbcast:2 row_mask:0xf bank_mask:0xf// 00000000B934: 0B0D0CFA FF01521B
	v_mul_f32_dpp v135, v27, v135 row_newbcast:3 row_mask:0xf bank_mask:0xf// 00000000B93C: 0B0F0EFA FF01531B
	v_mul_f32_dpp v136, v27, v136 row_newbcast:0 row_mask:0xf bank_mask:0xf// 00000000B944: 0B1110FA FF01501B
	v_mul_f32_dpp v137, v27, v137 row_newbcast:1 row_mask:0xf bank_mask:0xf// 00000000B94C: 0B1312FA FF01511B
	v_mul_f32_dpp v138, v27, v138 row_newbcast:2 row_mask:0xf bank_mask:0xf// 00000000B954: 0B1514FA FF01521B
	v_mul_f32_dpp v139, v27, v139 row_newbcast:3 row_mask:0xf bank_mask:0xf// 00000000B95C: 0B1716FA FF01531B
	v_mul_f32_dpp v140, v27, v140 row_newbcast:0 row_mask:0xf bank_mask:0xf// 00000000B964: 0B1918FA FF01501B
	v_mul_f32_dpp v141, v27, v141 row_newbcast:1 row_mask:0xf bank_mask:0xf// 00000000B96C: 0B1B1AFA FF01511B
	v_mul_f32_dpp v142, v27, v142 row_newbcast:2 row_mask:0xf bank_mask:0xf// 00000000B974: 0B1D1CFA FF01521B
	v_mul_f32_dpp v143, v27, v143 row_newbcast:3 row_mask:0xf bank_mask:0xf// 00000000B97C: 0B1F1EFA FF01531B
	v_mul_f32_dpp v144, v27, v144 row_newbcast:0 row_mask:0xf bank_mask:0xf// 00000000B984: 0B2120FA FF01501B
	v_mul_f32_dpp v145, v27, v145 row_newbcast:1 row_mask:0xf bank_mask:0xf// 00000000B98C: 0B2322FA FF01511B
	v_mul_f32_dpp v146, v27, v146 row_newbcast:2 row_mask:0xf bank_mask:0xf// 00000000B994: 0B2524FA FF01521B
	v_mul_f32_dpp v147, v27, v147 row_newbcast:3 row_mask:0xf bank_mask:0xf// 00000000B99C: 0B2726FA FF01531B
	v_mul_f32_dpp v148, v27, v148 row_newbcast:0 row_mask:0xf bank_mask:0xf// 00000000B9A4: 0B2928FA FF01501B
	v_mul_f32_dpp v149, v27, v149 row_newbcast:1 row_mask:0xf bank_mask:0xf// 00000000B9AC: 0B2B2AFA FF01511B
	v_mul_f32_dpp v150, v27, v150 row_newbcast:2 row_mask:0xf bank_mask:0xf// 00000000B9B4: 0B2D2CFA FF01521B
	v_mul_f32_dpp v151, v27, v151 row_newbcast:3 row_mask:0xf bank_mask:0xf// 00000000B9BC: 0B2F2EFA FF01531B
	v_mul_f32_dpp v152, v27, v152 row_newbcast:0 row_mask:0xf bank_mask:0xf// 00000000B9C4: 0B3130FA FF01501B
	v_mul_f32_dpp v153, v27, v153 row_newbcast:1 row_mask:0xf bank_mask:0xf// 00000000B9CC: 0B3332FA FF01511B
	v_mul_f32_dpp v154, v27, v154 row_newbcast:2 row_mask:0xf bank_mask:0xf// 00000000B9D4: 0B3534FA FF01521B
	v_mul_f32_dpp v155, v27, v155 row_newbcast:3 row_mask:0xf bank_mask:0xf// 00000000B9DC: 0B3736FA FF01531B
	v_mul_f32_dpp v156, v27, v156 row_newbcast:0 row_mask:0xf bank_mask:0xf// 00000000B9E4: 0B3938FA FF01501B
	v_mul_f32_dpp v157, v27, v157 row_newbcast:1 row_mask:0xf bank_mask:0xf// 00000000B9EC: 0B3B3AFA FF01511B
	v_mul_f32_dpp v158, v27, v158 row_newbcast:2 row_mask:0xf bank_mask:0xf// 00000000B9F4: 0B3D3CFA FF01521B
	v_mul_f32_dpp v159, v27, v159 row_newbcast:3 row_mask:0xf bank_mask:0xf// 00000000B9FC: 0B3F3EFA FF01531B
	v_mul_f32_dpp v160, v27, v160 row_newbcast:0 row_mask:0xf bank_mask:0xf// 00000000BA04: 0B4140FA FF01501B
	v_mul_f32_dpp v161, v27, v161 row_newbcast:1 row_mask:0xf bank_mask:0xf// 00000000BA0C: 0B4342FA FF01511B
	v_mul_f32_dpp v162, v27, v162 row_newbcast:2 row_mask:0xf bank_mask:0xf// 00000000BA14: 0B4544FA FF01521B
	v_mul_f32_dpp v163, v27, v163 row_newbcast:3 row_mask:0xf bank_mask:0xf// 00000000BA1C: 0B4746FA FF01531B
	v_mul_f32_dpp v164, v27, v164 row_newbcast:0 row_mask:0xf bank_mask:0xf// 00000000BA24: 0B4948FA FF01501B
	v_mul_f32_dpp v165, v27, v165 row_newbcast:1 row_mask:0xf bank_mask:0xf// 00000000BA2C: 0B4B4AFA FF01511B
	v_mul_f32_dpp v166, v27, v166 row_newbcast:2 row_mask:0xf bank_mask:0xf// 00000000BA34: 0B4D4CFA FF01521B
	v_mul_f32_dpp v167, v27, v167 row_newbcast:3 row_mask:0xf bank_mask:0xf// 00000000BA3C: 0B4F4EFA FF01531B
	v_mul_f32_dpp v168, v27, v168 row_newbcast:0 row_mask:0xf bank_mask:0xf// 00000000BA44: 0B5150FA FF01501B
	v_mul_f32_dpp v169, v27, v169 row_newbcast:1 row_mask:0xf bank_mask:0xf// 00000000BA4C: 0B5352FA FF01511B
	v_mul_f32_dpp v170, v27, v170 row_newbcast:2 row_mask:0xf bank_mask:0xf// 00000000BA54: 0B5554FA FF01521B
	v_mul_f32_dpp v171, v27, v171 row_newbcast:3 row_mask:0xf bank_mask:0xf// 00000000BA5C: 0B5756FA FF01531B
	v_mul_f32_e32 v40, v40, v172                               // 00000000BA64: 0A515928
	v_mov_b32_e32 v4, v40                                      // 00000000BA68: 7E080328
	v_mov_b32_e32 v5, v4                                       // 00000000BA6C: 7E0A0304
	v_pk_mul_f32 v[92:93], v[4:5], v[92:93]                    // 00000000BA70: D3B1405C 1802B904
	v_pk_mul_f32 v[132:133], v[4:5], v[132:133]                // 00000000BA78: D3B14084 18030904
	v_pk_mul_f32 v[94:95], v[4:5], v[94:95]                    // 00000000BA80: D3B1405E 1802BD04
	v_pk_mul_f32 v[134:135], v[4:5], v[134:135]                // 00000000BA88: D3B14086 18030D04
	v_mul_f32_e32 v41, v41, v173                               // 00000000BA90: 0A535B29
	v_mov_b32_e32 v4, v41                                      // 00000000BA94: 7E080329
	v_mov_b32_e32 v5, v4                                       // 00000000BA98: 7E0A0304
	v_pk_mul_f32 v[96:97], v[4:5], v[96:97]                    // 00000000BA9C: D3B14060 1802C104
	v_pk_mul_f32 v[136:137], v[4:5], v[136:137]                // 00000000BAA4: D3B14088 18031104
	v_pk_mul_f32 v[98:99], v[4:5], v[98:99]                    // 00000000BAAC: D3B14062 1802C504
	v_pk_mul_f32 v[138:139], v[4:5], v[138:139]                // 00000000BAB4: D3B1408A 18031504
	v_mul_f32_e32 v42, v42, v174                               // 00000000BABC: 0A555D2A
	v_mov_b32_e32 v4, v42                                      // 00000000BAC0: 7E08032A
	v_mov_b32_e32 v5, v4                                       // 00000000BAC4: 7E0A0304
	v_pk_mul_f32 v[100:101], v[4:5], v[100:101]                // 00000000BAC8: D3B14064 1802C904
	v_pk_mul_f32 v[140:141], v[4:5], v[140:141]                // 00000000BAD0: D3B1408C 18031904
	v_pk_mul_f32 v[102:103], v[4:5], v[102:103]                // 00000000BAD8: D3B14066 1802CD04
	v_pk_mul_f32 v[142:143], v[4:5], v[142:143]                // 00000000BAE0: D3B1408E 18031D04
	v_mul_f32_e32 v43, v43, v175                               // 00000000BAE8: 0A575F2B
	v_mov_b32_e32 v4, v43                                      // 00000000BAEC: 7E08032B
	v_mov_b32_e32 v5, v4                                       // 00000000BAF0: 7E0A0304
	v_pk_mul_f32 v[104:105], v[4:5], v[104:105]                // 00000000BAF4: D3B14068 1802D104
	v_pk_mul_f32 v[144:145], v[4:5], v[144:145]                // 00000000BAFC: D3B14090 18032104
	v_pk_mul_f32 v[106:107], v[4:5], v[106:107]                // 00000000BB04: D3B1406A 1802D504
	v_pk_mul_f32 v[146:147], v[4:5], v[146:147]                // 00000000BB0C: D3B14092 18032504
	v_mul_f32_e32 v44, v44, v176                               // 00000000BB14: 0A59612C
	v_mov_b32_e32 v4, v44                                      // 00000000BB18: 7E08032C
	v_mov_b32_e32 v5, v4                                       // 00000000BB1C: 7E0A0304
	v_pk_mul_f32 v[108:109], v[4:5], v[108:109]                // 00000000BB20: D3B1406C 1802D904
	v_pk_mul_f32 v[148:149], v[4:5], v[148:149]                // 00000000BB28: D3B14094 18032904
	v_pk_mul_f32 v[110:111], v[4:5], v[110:111]                // 00000000BB30: D3B1406E 1802DD04
	v_pk_mul_f32 v[150:151], v[4:5], v[150:151]                // 00000000BB38: D3B14096 18032D04
	v_mul_f32_e32 v45, v45, v177                               // 00000000BB40: 0A5B632D
	v_mov_b32_e32 v4, v45                                      // 00000000BB44: 7E08032D
	v_mov_b32_e32 v5, v4                                       // 00000000BB48: 7E0A0304
	v_pk_mul_f32 v[112:113], v[4:5], v[112:113]                // 00000000BB4C: D3B14070 1802E104
	v_pk_mul_f32 v[152:153], v[4:5], v[152:153]                // 00000000BB54: D3B14098 18033104
	v_pk_mul_f32 v[114:115], v[4:5], v[114:115]                // 00000000BB5C: D3B14072 1802E504
	v_pk_mul_f32 v[154:155], v[4:5], v[154:155]                // 00000000BB64: D3B1409A 18033504
	v_mul_f32_e32 v46, v46, v178                               // 00000000BB6C: 0A5D652E
	v_mov_b32_e32 v4, v46                                      // 00000000BB70: 7E08032E
	v_mov_b32_e32 v5, v4                                       // 00000000BB74: 7E0A0304
	v_pk_mul_f32 v[116:117], v[4:5], v[116:117]                // 00000000BB78: D3B14074 1802E904
	v_pk_mul_f32 v[156:157], v[4:5], v[156:157]                // 00000000BB80: D3B1409C 18033904
	v_pk_mul_f32 v[118:119], v[4:5], v[118:119]                // 00000000BB88: D3B14076 1802ED04
	v_pk_mul_f32 v[158:159], v[4:5], v[158:159]                // 00000000BB90: D3B1409E 18033D04
	v_mul_f32_e32 v47, v47, v179                               // 00000000BB98: 0A5F672F
	v_mov_b32_e32 v4, v47                                      // 00000000BB9C: 7E08032F
	v_mov_b32_e32 v5, v4                                       // 00000000BBA0: 7E0A0304
	v_pk_mul_f32 v[120:121], v[4:5], v[120:121]                // 00000000BBA4: D3B14078 1802F104
	v_pk_mul_f32 v[160:161], v[4:5], v[160:161]                // 00000000BBAC: D3B140A0 18034104
	v_pk_mul_f32 v[122:123], v[4:5], v[122:123]                // 00000000BBB4: D3B1407A 1802F504
	v_pk_mul_f32 v[162:163], v[4:5], v[162:163]                // 00000000BBBC: D3B140A2 18034504
	v_mul_f32_e32 v48, v48, v180                               // 00000000BBC4: 0A616930
	v_mov_b32_e32 v4, v48                                      // 00000000BBC8: 7E080330
	v_mov_b32_e32 v5, v4                                       // 00000000BBCC: 7E0A0304
	v_pk_mul_f32 v[124:125], v[4:5], v[124:125]                // 00000000BBD0: D3B1407C 1802F904
	v_pk_mul_f32 v[164:165], v[4:5], v[164:165]                // 00000000BBD8: D3B140A4 18034904
	v_pk_mul_f32 v[126:127], v[4:5], v[126:127]                // 00000000BBE0: D3B1407E 1802FD04
	v_pk_mul_f32 v[166:167], v[4:5], v[166:167]                // 00000000BBE8: D3B140A6 18034D04
	v_mul_f32_e32 v49, v49, v181                               // 00000000BBF0: 0A636B31
	v_mov_b32_e32 v4, v49                                      // 00000000BBF4: 7E080331
	v_mov_b32_e32 v5, v4                                       // 00000000BBF8: 7E0A0304
	v_pk_mul_f32 v[128:129], v[4:5], v[128:129]                // 00000000BBFC: D3B14080 18030104
	v_pk_mul_f32 v[168:169], v[4:5], v[168:169]                // 00000000BC04: D3B140A8 18035104
	v_pk_mul_f32 v[130:131], v[4:5], v[130:131]                // 00000000BC0C: D3B14082 18030504
	v_pk_mul_f32 v[170:171], v[4:5], v[170:171]                // 00000000BC14: D3B140AA 18035504
	s_cmp_eq_u32 s88, 0                                        // 00000000BC1C: BF068058
	s_cbranch_scc0 label_2BF1                                  // 00000000BC20: BF840765
	s_cmp_eq_u32 s89, 0                                        // 00000000BC24: BF068059
	s_cbranch_scc1 label_2623                                  // 00000000BC28: BF850195
	v_mov_b32_e32 v8, v1                                       // 00000000BC2C: 7E100301
	v_mov_b32_e32 v9, v1                                       // 00000000BC30: 7E120301
	s_mov_b32 s60, s6                                          // 00000000BC34: BEBC0006
	s_mov_b32 s61, s6                                          // 00000000BC38: BEBD0006
	v_pk_mul_f32 v[4:5], v[92:93], v[92:93]                    // 00000000BC3C: D3B14004 1802B95C
	v_pk_mul_f32 v[6:7], v[94:95], v[94:95]                    // 00000000BC44: D3B14006 1802BD5E
	v_pk_fma_f32 v[4:5], v[4:5], s[78:79], v[8:9]              // 00000000BC4C: D3B04004 1C209D04
	v_pk_fma_f32 v[6:7], v[6:7], s[78:79], v[8:9]              // 00000000BC54: D3B04006 1C209D06
	v_pk_mul_f32 v[4:5], v[4:5], v[92:93]                      // 00000000BC5C: D3B14004 1802B904
	v_pk_mul_f32 v[6:7], v[6:7], v[94:95]                      // 00000000BC64: D3B14006 1802BD06
	v_pk_mul_f32 v[4:5], v[4:5], s[60:61]                      // 00000000BC6C: D3B14004 18007904
	v_pk_mul_f32 v[6:7], v[6:7], s[60:61]                      // 00000000BC74: D3B14006 18007906
	v_exp_f32_e32 v4, v4                                       // 00000000BC7C: 7E084104
	v_exp_f32_e32 v5, v5                                       // 00000000BC80: 7E0A4105
	v_exp_f32_e32 v6, v6                                       // 00000000BC84: 7E0C4106
	v_exp_f32_e32 v7, v7                                       // 00000000BC88: 7E0E4107
	v_add_f32_e64 v4, v4, 1.0                                  // 00000000BC8C: D1010004 0001E504
	v_add_f32_e64 v5, v5, 1.0                                  // 00000000BC94: D1010005 0001E505
	v_add_f32_e64 v6, v6, 1.0                                  // 00000000BC9C: D1010006 0001E506
	v_add_f32_e64 v7, v7, 1.0                                  // 00000000BCA4: D1010007 0001E507
	v_rcp_f32_e32 v4, v4                                       // 00000000BCAC: 7E084504
	v_rcp_f32_e32 v5, v5                                       // 00000000BCB0: 7E0A4505
	v_rcp_f32_e32 v6, v6                                       // 00000000BCB4: 7E0C4506
	v_rcp_f32_e32 v7, v7                                       // 00000000BCB8: 7E0E4507
	v_mul_f32_e32 v92, v92, v4                                 // 00000000BCBC: 0AB8095C
	v_mul_f32_e32 v93, v93, v5                                 // 00000000BCC0: 0ABA0B5D
	v_mul_f32_e32 v94, v94, v6                                 // 00000000BCC4: 0ABC0D5E
	v_mul_f32_e32 v95, v95, v7                                 // 00000000BCC8: 0ABE0F5F
	v_mul_f32_e32 v92, v92, v132                               // 00000000BCCC: 0AB9095C
	v_mul_f32_e32 v93, v93, v133                               // 00000000BCD0: 0ABB0B5D
	v_mul_f32_e32 v94, v94, v134                               // 00000000BCD4: 0ABD0D5E
	v_mul_f32_e32 v95, v95, v135                               // 00000000BCD8: 0ABF0F5F
	v_pk_mul_f32 v[4:5], v[96:97], v[96:97]                    // 00000000BCDC: D3B14004 1802C160
	v_pk_mul_f32 v[6:7], v[98:99], v[98:99]                    // 00000000BCE4: D3B14006 1802C562
	v_pk_fma_f32 v[4:5], v[4:5], s[78:79], v[8:9]              // 00000000BCEC: D3B04004 1C209D04
	v_pk_fma_f32 v[6:7], v[6:7], s[78:79], v[8:9]              // 00000000BCF4: D3B04006 1C209D06
	v_pk_mul_f32 v[4:5], v[4:5], v[96:97]                      // 00000000BCFC: D3B14004 1802C104
	v_pk_mul_f32 v[6:7], v[6:7], v[98:99]                      // 00000000BD04: D3B14006 1802C506
	v_pk_mul_f32 v[4:5], v[4:5], s[60:61]                      // 00000000BD0C: D3B14004 18007904
	v_pk_mul_f32 v[6:7], v[6:7], s[60:61]                      // 00000000BD14: D3B14006 18007906
	v_exp_f32_e32 v4, v4                                       // 00000000BD1C: 7E084104
	v_exp_f32_e32 v5, v5                                       // 00000000BD20: 7E0A4105
	v_exp_f32_e32 v6, v6                                       // 00000000BD24: 7E0C4106
	v_exp_f32_e32 v7, v7                                       // 00000000BD28: 7E0E4107
	v_add_f32_e64 v4, v4, 1.0                                  // 00000000BD2C: D1010004 0001E504
	v_add_f32_e64 v5, v5, 1.0                                  // 00000000BD34: D1010005 0001E505
	v_add_f32_e64 v6, v6, 1.0                                  // 00000000BD3C: D1010006 0001E506
	v_add_f32_e64 v7, v7, 1.0                                  // 00000000BD44: D1010007 0001E507
	v_rcp_f32_e32 v4, v4                                       // 00000000BD4C: 7E084504
	v_rcp_f32_e32 v5, v5                                       // 00000000BD50: 7E0A4505
	v_rcp_f32_e32 v6, v6                                       // 00000000BD54: 7E0C4506
	v_rcp_f32_e32 v7, v7                                       // 00000000BD58: 7E0E4507
	v_mul_f32_e32 v96, v96, v4                                 // 00000000BD5C: 0AC00960
	v_mul_f32_e32 v97, v97, v5                                 // 00000000BD60: 0AC20B61
	v_mul_f32_e32 v98, v98, v6                                 // 00000000BD64: 0AC40D62
	v_mul_f32_e32 v99, v99, v7                                 // 00000000BD68: 0AC60F63
	v_mul_f32_e32 v96, v96, v136                               // 00000000BD6C: 0AC11160
	v_mul_f32_e32 v97, v97, v137                               // 00000000BD70: 0AC31361
	v_mul_f32_e32 v98, v98, v138                               // 00000000BD74: 0AC51562
	v_mul_f32_e32 v99, v99, v139                               // 00000000BD78: 0AC71763
	v_pk_mul_f32 v[4:5], v[100:101], v[100:101]                // 00000000BD7C: D3B14004 1802C964
	v_pk_mul_f32 v[6:7], v[102:103], v[102:103]                // 00000000BD84: D3B14006 1802CD66
	v_pk_fma_f32 v[4:5], v[4:5], s[78:79], v[8:9]              // 00000000BD8C: D3B04004 1C209D04
	v_pk_fma_f32 v[6:7], v[6:7], s[78:79], v[8:9]              // 00000000BD94: D3B04006 1C209D06
	v_pk_mul_f32 v[4:5], v[4:5], v[100:101]                    // 00000000BD9C: D3B14004 1802C904
	v_pk_mul_f32 v[6:7], v[6:7], v[102:103]                    // 00000000BDA4: D3B14006 1802CD06
	v_pk_mul_f32 v[4:5], v[4:5], s[60:61]                      // 00000000BDAC: D3B14004 18007904
	v_pk_mul_f32 v[6:7], v[6:7], s[60:61]                      // 00000000BDB4: D3B14006 18007906
	v_exp_f32_e32 v4, v4                                       // 00000000BDBC: 7E084104
	v_exp_f32_e32 v5, v5                                       // 00000000BDC0: 7E0A4105
	v_exp_f32_e32 v6, v6                                       // 00000000BDC4: 7E0C4106
	v_exp_f32_e32 v7, v7                                       // 00000000BDC8: 7E0E4107
	v_add_f32_e64 v4, v4, 1.0                                  // 00000000BDCC: D1010004 0001E504
	v_add_f32_e64 v5, v5, 1.0                                  // 00000000BDD4: D1010005 0001E505
	v_add_f32_e64 v6, v6, 1.0                                  // 00000000BDDC: D1010006 0001E506
	v_add_f32_e64 v7, v7, 1.0                                  // 00000000BDE4: D1010007 0001E507
	v_rcp_f32_e32 v4, v4                                       // 00000000BDEC: 7E084504
	v_rcp_f32_e32 v5, v5                                       // 00000000BDF0: 7E0A4505
	v_rcp_f32_e32 v6, v6                                       // 00000000BDF4: 7E0C4506
	v_rcp_f32_e32 v7, v7                                       // 00000000BDF8: 7E0E4507
	v_mul_f32_e32 v100, v100, v4                               // 00000000BDFC: 0AC80964
	v_mul_f32_e32 v101, v101, v5                               // 00000000BE00: 0ACA0B65
	v_mul_f32_e32 v102, v102, v6                               // 00000000BE04: 0ACC0D66
	v_mul_f32_e32 v103, v103, v7                               // 00000000BE08: 0ACE0F67
	v_mul_f32_e32 v100, v100, v140                             // 00000000BE0C: 0AC91964
	v_mul_f32_e32 v101, v101, v141                             // 00000000BE10: 0ACB1B65
	v_mul_f32_e32 v102, v102, v142                             // 00000000BE14: 0ACD1D66
	v_mul_f32_e32 v103, v103, v143                             // 00000000BE18: 0ACF1F67
	v_pk_mul_f32 v[4:5], v[104:105], v[104:105]                // 00000000BE1C: D3B14004 1802D168
	v_pk_mul_f32 v[6:7], v[106:107], v[106:107]                // 00000000BE24: D3B14006 1802D56A
	v_pk_fma_f32 v[4:5], v[4:5], s[78:79], v[8:9]              // 00000000BE2C: D3B04004 1C209D04
	v_pk_fma_f32 v[6:7], v[6:7], s[78:79], v[8:9]              // 00000000BE34: D3B04006 1C209D06
	v_pk_mul_f32 v[4:5], v[4:5], v[104:105]                    // 00000000BE3C: D3B14004 1802D104
	v_pk_mul_f32 v[6:7], v[6:7], v[106:107]                    // 00000000BE44: D3B14006 1802D506
	v_pk_mul_f32 v[4:5], v[4:5], s[60:61]                      // 00000000BE4C: D3B14004 18007904
	v_pk_mul_f32 v[6:7], v[6:7], s[60:61]                      // 00000000BE54: D3B14006 18007906
	v_exp_f32_e32 v4, v4                                       // 00000000BE5C: 7E084104
	v_exp_f32_e32 v5, v5                                       // 00000000BE60: 7E0A4105
	v_exp_f32_e32 v6, v6                                       // 00000000BE64: 7E0C4106
	v_exp_f32_e32 v7, v7                                       // 00000000BE68: 7E0E4107
	v_add_f32_e64 v4, v4, 1.0                                  // 00000000BE6C: D1010004 0001E504
	v_add_f32_e64 v5, v5, 1.0                                  // 00000000BE74: D1010005 0001E505
	v_add_f32_e64 v6, v6, 1.0                                  // 00000000BE7C: D1010006 0001E506
	v_add_f32_e64 v7, v7, 1.0                                  // 00000000BE84: D1010007 0001E507
	v_rcp_f32_e32 v4, v4                                       // 00000000BE8C: 7E084504
	v_rcp_f32_e32 v5, v5                                       // 00000000BE90: 7E0A4505
	v_rcp_f32_e32 v6, v6                                       // 00000000BE94: 7E0C4506
	v_rcp_f32_e32 v7, v7                                       // 00000000BE98: 7E0E4507
	v_mul_f32_e32 v104, v104, v4                               // 00000000BE9C: 0AD00968
	v_mul_f32_e32 v105, v105, v5                               // 00000000BEA0: 0AD20B69
	v_mul_f32_e32 v106, v106, v6                               // 00000000BEA4: 0AD40D6A
	v_mul_f32_e32 v107, v107, v7                               // 00000000BEA8: 0AD60F6B
	v_mul_f32_e32 v104, v104, v144                             // 00000000BEAC: 0AD12168
	v_mul_f32_e32 v105, v105, v145                             // 00000000BEB0: 0AD32369
	v_mul_f32_e32 v106, v106, v146                             // 00000000BEB4: 0AD5256A
	v_mul_f32_e32 v107, v107, v147                             // 00000000BEB8: 0AD7276B
	v_pk_mul_f32 v[4:5], v[108:109], v[108:109]                // 00000000BEBC: D3B14004 1802D96C
	v_pk_mul_f32 v[6:7], v[110:111], v[110:111]                // 00000000BEC4: D3B14006 1802DD6E
	v_pk_fma_f32 v[4:5], v[4:5], s[78:79], v[8:9]              // 00000000BECC: D3B04004 1C209D04
	v_pk_fma_f32 v[6:7], v[6:7], s[78:79], v[8:9]              // 00000000BED4: D3B04006 1C209D06
	v_pk_mul_f32 v[4:5], v[4:5], v[108:109]                    // 00000000BEDC: D3B14004 1802D904
	v_pk_mul_f32 v[6:7], v[6:7], v[110:111]                    // 00000000BEE4: D3B14006 1802DD06
	v_pk_mul_f32 v[4:5], v[4:5], s[60:61]                      // 00000000BEEC: D3B14004 18007904
	v_pk_mul_f32 v[6:7], v[6:7], s[60:61]                      // 00000000BEF4: D3B14006 18007906
	v_exp_f32_e32 v4, v4                                       // 00000000BEFC: 7E084104
	v_exp_f32_e32 v5, v5                                       // 00000000BF00: 7E0A4105
	v_exp_f32_e32 v6, v6                                       // 00000000BF04: 7E0C4106
	v_exp_f32_e32 v7, v7                                       // 00000000BF08: 7E0E4107
	v_add_f32_e64 v4, v4, 1.0                                  // 00000000BF0C: D1010004 0001E504
	v_add_f32_e64 v5, v5, 1.0                                  // 00000000BF14: D1010005 0001E505
	v_add_f32_e64 v6, v6, 1.0                                  // 00000000BF1C: D1010006 0001E506
	v_add_f32_e64 v7, v7, 1.0                                  // 00000000BF24: D1010007 0001E507
	v_rcp_f32_e32 v4, v4                                       // 00000000BF2C: 7E084504
	v_rcp_f32_e32 v5, v5                                       // 00000000BF30: 7E0A4505
	v_rcp_f32_e32 v6, v6                                       // 00000000BF34: 7E0C4506
	v_rcp_f32_e32 v7, v7                                       // 00000000BF38: 7E0E4507
	v_mul_f32_e32 v108, v108, v4                               // 00000000BF3C: 0AD8096C
	v_mul_f32_e32 v109, v109, v5                               // 00000000BF40: 0ADA0B6D
	v_mul_f32_e32 v110, v110, v6                               // 00000000BF44: 0ADC0D6E
	v_mul_f32_e32 v111, v111, v7                               // 00000000BF48: 0ADE0F6F
	v_mul_f32_e32 v108, v108, v148                             // 00000000BF4C: 0AD9296C
	v_mul_f32_e32 v109, v109, v149                             // 00000000BF50: 0ADB2B6D
	v_mul_f32_e32 v110, v110, v150                             // 00000000BF54: 0ADD2D6E
	v_mul_f32_e32 v111, v111, v151                             // 00000000BF58: 0ADF2F6F
	v_pk_mul_f32 v[4:5], v[112:113], v[112:113]                // 00000000BF5C: D3B14004 1802E170
	v_pk_mul_f32 v[6:7], v[114:115], v[114:115]                // 00000000BF64: D3B14006 1802E572
	v_pk_fma_f32 v[4:5], v[4:5], s[78:79], v[8:9]              // 00000000BF6C: D3B04004 1C209D04
	v_pk_fma_f32 v[6:7], v[6:7], s[78:79], v[8:9]              // 00000000BF74: D3B04006 1C209D06
	v_pk_mul_f32 v[4:5], v[4:5], v[112:113]                    // 00000000BF7C: D3B14004 1802E104
	v_pk_mul_f32 v[6:7], v[6:7], v[114:115]                    // 00000000BF84: D3B14006 1802E506
	v_pk_mul_f32 v[4:5], v[4:5], s[60:61]                      // 00000000BF8C: D3B14004 18007904
	v_pk_mul_f32 v[6:7], v[6:7], s[60:61]                      // 00000000BF94: D3B14006 18007906
	v_exp_f32_e32 v4, v4                                       // 00000000BF9C: 7E084104
	v_exp_f32_e32 v5, v5                                       // 00000000BFA0: 7E0A4105
	v_exp_f32_e32 v6, v6                                       // 00000000BFA4: 7E0C4106
	v_exp_f32_e32 v7, v7                                       // 00000000BFA8: 7E0E4107
	v_add_f32_e64 v4, v4, 1.0                                  // 00000000BFAC: D1010004 0001E504
	v_add_f32_e64 v5, v5, 1.0                                  // 00000000BFB4: D1010005 0001E505
	v_add_f32_e64 v6, v6, 1.0                                  // 00000000BFBC: D1010006 0001E506
	v_add_f32_e64 v7, v7, 1.0                                  // 00000000BFC4: D1010007 0001E507
	v_rcp_f32_e32 v4, v4                                       // 00000000BFCC: 7E084504
	v_rcp_f32_e32 v5, v5                                       // 00000000BFD0: 7E0A4505
	v_rcp_f32_e32 v6, v6                                       // 00000000BFD4: 7E0C4506
	v_rcp_f32_e32 v7, v7                                       // 00000000BFD8: 7E0E4507
	v_mul_f32_e32 v112, v112, v4                               // 00000000BFDC: 0AE00970
	v_mul_f32_e32 v113, v113, v5                               // 00000000BFE0: 0AE20B71
	v_mul_f32_e32 v114, v114, v6                               // 00000000BFE4: 0AE40D72
	v_mul_f32_e32 v115, v115, v7                               // 00000000BFE8: 0AE60F73
	v_mul_f32_e32 v112, v112, v152                             // 00000000BFEC: 0AE13170
	v_mul_f32_e32 v113, v113, v153                             // 00000000BFF0: 0AE33371
	v_mul_f32_e32 v114, v114, v154                             // 00000000BFF4: 0AE53572
	v_mul_f32_e32 v115, v115, v155                             // 00000000BFF8: 0AE73773
	v_pk_mul_f32 v[4:5], v[116:117], v[116:117]                // 00000000BFFC: D3B14004 1802E974
	v_pk_mul_f32 v[6:7], v[118:119], v[118:119]                // 00000000C004: D3B14006 1802ED76
	v_pk_fma_f32 v[4:5], v[4:5], s[78:79], v[8:9]              // 00000000C00C: D3B04004 1C209D04
	v_pk_fma_f32 v[6:7], v[6:7], s[78:79], v[8:9]              // 00000000C014: D3B04006 1C209D06
	v_pk_mul_f32 v[4:5], v[4:5], v[116:117]                    // 00000000C01C: D3B14004 1802E904
	v_pk_mul_f32 v[6:7], v[6:7], v[118:119]                    // 00000000C024: D3B14006 1802ED06
	v_pk_mul_f32 v[4:5], v[4:5], s[60:61]                      // 00000000C02C: D3B14004 18007904
	v_pk_mul_f32 v[6:7], v[6:7], s[60:61]                      // 00000000C034: D3B14006 18007906
	v_exp_f32_e32 v4, v4                                       // 00000000C03C: 7E084104
	v_exp_f32_e32 v5, v5                                       // 00000000C040: 7E0A4105
	v_exp_f32_e32 v6, v6                                       // 00000000C044: 7E0C4106
	v_exp_f32_e32 v7, v7                                       // 00000000C048: 7E0E4107
	v_add_f32_e64 v4, v4, 1.0                                  // 00000000C04C: D1010004 0001E504
	v_add_f32_e64 v5, v5, 1.0                                  // 00000000C054: D1010005 0001E505
	v_add_f32_e64 v6, v6, 1.0                                  // 00000000C05C: D1010006 0001E506
	v_add_f32_e64 v7, v7, 1.0                                  // 00000000C064: D1010007 0001E507
	v_rcp_f32_e32 v4, v4                                       // 00000000C06C: 7E084504
	v_rcp_f32_e32 v5, v5                                       // 00000000C070: 7E0A4505
	v_rcp_f32_e32 v6, v6                                       // 00000000C074: 7E0C4506
	v_rcp_f32_e32 v7, v7                                       // 00000000C078: 7E0E4507
	v_mul_f32_e32 v116, v116, v4                               // 00000000C07C: 0AE80974
	v_mul_f32_e32 v117, v117, v5                               // 00000000C080: 0AEA0B75
	v_mul_f32_e32 v118, v118, v6                               // 00000000C084: 0AEC0D76
	v_mul_f32_e32 v119, v119, v7                               // 00000000C088: 0AEE0F77
	v_mul_f32_e32 v116, v116, v156                             // 00000000C08C: 0AE93974
	v_mul_f32_e32 v117, v117, v157                             // 00000000C090: 0AEB3B75
	v_mul_f32_e32 v118, v118, v158                             // 00000000C094: 0AED3D76
	v_mul_f32_e32 v119, v119, v159                             // 00000000C098: 0AEF3F77
	v_pk_mul_f32 v[4:5], v[120:121], v[120:121]                // 00000000C09C: D3B14004 1802F178
	v_pk_mul_f32 v[6:7], v[122:123], v[122:123]                // 00000000C0A4: D3B14006 1802F57A
	v_pk_fma_f32 v[4:5], v[4:5], s[78:79], v[8:9]              // 00000000C0AC: D3B04004 1C209D04
	v_pk_fma_f32 v[6:7], v[6:7], s[78:79], v[8:9]              // 00000000C0B4: D3B04006 1C209D06
	v_pk_mul_f32 v[4:5], v[4:5], v[120:121]                    // 00000000C0BC: D3B14004 1802F104
	v_pk_mul_f32 v[6:7], v[6:7], v[122:123]                    // 00000000C0C4: D3B14006 1802F506
	v_pk_mul_f32 v[4:5], v[4:5], s[60:61]                      // 00000000C0CC: D3B14004 18007904
	v_pk_mul_f32 v[6:7], v[6:7], s[60:61]                      // 00000000C0D4: D3B14006 18007906
	v_exp_f32_e32 v4, v4                                       // 00000000C0DC: 7E084104
	v_exp_f32_e32 v5, v5                                       // 00000000C0E0: 7E0A4105
	v_exp_f32_e32 v6, v6                                       // 00000000C0E4: 7E0C4106
	v_exp_f32_e32 v7, v7                                       // 00000000C0E8: 7E0E4107
	v_add_f32_e64 v4, v4, 1.0                                  // 00000000C0EC: D1010004 0001E504
	v_add_f32_e64 v5, v5, 1.0                                  // 00000000C0F4: D1010005 0001E505
	v_add_f32_e64 v6, v6, 1.0                                  // 00000000C0FC: D1010006 0001E506
	v_add_f32_e64 v7, v7, 1.0                                  // 00000000C104: D1010007 0001E507
	v_rcp_f32_e32 v4, v4                                       // 00000000C10C: 7E084504
	v_rcp_f32_e32 v5, v5                                       // 00000000C110: 7E0A4505
	v_rcp_f32_e32 v6, v6                                       // 00000000C114: 7E0C4506
	v_rcp_f32_e32 v7, v7                                       // 00000000C118: 7E0E4507
	v_mul_f32_e32 v120, v120, v4                               // 00000000C11C: 0AF00978
	v_mul_f32_e32 v121, v121, v5                               // 00000000C120: 0AF20B79
	v_mul_f32_e32 v122, v122, v6                               // 00000000C124: 0AF40D7A
	v_mul_f32_e32 v123, v123, v7                               // 00000000C128: 0AF60F7B
	v_mul_f32_e32 v120, v120, v160                             // 00000000C12C: 0AF14178
	v_mul_f32_e32 v121, v121, v161                             // 00000000C130: 0AF34379
	v_mul_f32_e32 v122, v122, v162                             // 00000000C134: 0AF5457A
	v_mul_f32_e32 v123, v123, v163                             // 00000000C138: 0AF7477B
	v_pk_mul_f32 v[4:5], v[124:125], v[124:125]                // 00000000C13C: D3B14004 1802F97C
	v_pk_mul_f32 v[6:7], v[126:127], v[126:127]                // 00000000C144: D3B14006 1802FD7E
	v_pk_fma_f32 v[4:5], v[4:5], s[78:79], v[8:9]              // 00000000C14C: D3B04004 1C209D04
	v_pk_fma_f32 v[6:7], v[6:7], s[78:79], v[8:9]              // 00000000C154: D3B04006 1C209D06
	v_pk_mul_f32 v[4:5], v[4:5], v[124:125]                    // 00000000C15C: D3B14004 1802F904
	v_pk_mul_f32 v[6:7], v[6:7], v[126:127]                    // 00000000C164: D3B14006 1802FD06
	v_pk_mul_f32 v[4:5], v[4:5], s[60:61]                      // 00000000C16C: D3B14004 18007904
	v_pk_mul_f32 v[6:7], v[6:7], s[60:61]                      // 00000000C174: D3B14006 18007906
	v_exp_f32_e32 v4, v4                                       // 00000000C17C: 7E084104
	v_exp_f32_e32 v5, v5                                       // 00000000C180: 7E0A4105
	v_exp_f32_e32 v6, v6                                       // 00000000C184: 7E0C4106
	v_exp_f32_e32 v7, v7                                       // 00000000C188: 7E0E4107
	v_add_f32_e64 v4, v4, 1.0                                  // 00000000C18C: D1010004 0001E504
	v_add_f32_e64 v5, v5, 1.0                                  // 00000000C194: D1010005 0001E505
	v_add_f32_e64 v6, v6, 1.0                                  // 00000000C19C: D1010006 0001E506
	v_add_f32_e64 v7, v7, 1.0                                  // 00000000C1A4: D1010007 0001E507
	v_rcp_f32_e32 v4, v4                                       // 00000000C1AC: 7E084504
	v_rcp_f32_e32 v5, v5                                       // 00000000C1B0: 7E0A4505
	v_rcp_f32_e32 v6, v6                                       // 00000000C1B4: 7E0C4506
	v_rcp_f32_e32 v7, v7                                       // 00000000C1B8: 7E0E4507
	v_mul_f32_e32 v124, v124, v4                               // 00000000C1BC: 0AF8097C
	v_mul_f32_e32 v125, v125, v5                               // 00000000C1C0: 0AFA0B7D
	v_mul_f32_e32 v126, v126, v6                               // 00000000C1C4: 0AFC0D7E
	v_mul_f32_e32 v127, v127, v7                               // 00000000C1C8: 0AFE0F7F
	v_mul_f32_e32 v124, v124, v164                             // 00000000C1CC: 0AF9497C
	v_mul_f32_e32 v125, v125, v165                             // 00000000C1D0: 0AFB4B7D
	v_mul_f32_e32 v126, v126, v166                             // 00000000C1D4: 0AFD4D7E
	v_mul_f32_e32 v127, v127, v167                             // 00000000C1D8: 0AFF4F7F
	v_pk_mul_f32 v[4:5], v[128:129], v[128:129]                // 00000000C1DC: D3B14004 18030180
	v_pk_mul_f32 v[6:7], v[130:131], v[130:131]                // 00000000C1E4: D3B14006 18030582
	v_pk_fma_f32 v[4:5], v[4:5], s[78:79], v[8:9]              // 00000000C1EC: D3B04004 1C209D04
	v_pk_fma_f32 v[6:7], v[6:7], s[78:79], v[8:9]              // 00000000C1F4: D3B04006 1C209D06
	v_pk_mul_f32 v[4:5], v[4:5], v[128:129]                    // 00000000C1FC: D3B14004 18030104
	v_pk_mul_f32 v[6:7], v[6:7], v[130:131]                    // 00000000C204: D3B14006 18030506
	v_pk_mul_f32 v[4:5], v[4:5], s[60:61]                      // 00000000C20C: D3B14004 18007904
	v_pk_mul_f32 v[6:7], v[6:7], s[60:61]                      // 00000000C214: D3B14006 18007906
	v_exp_f32_e32 v4, v4                                       // 00000000C21C: 7E084104
	v_exp_f32_e32 v5, v5                                       // 00000000C220: 7E0A4105
	v_exp_f32_e32 v6, v6                                       // 00000000C224: 7E0C4106
	v_exp_f32_e32 v7, v7                                       // 00000000C228: 7E0E4107
	v_add_f32_e64 v4, v4, 1.0                                  // 00000000C22C: D1010004 0001E504
	v_add_f32_e64 v5, v5, 1.0                                  // 00000000C234: D1010005 0001E505
	v_add_f32_e64 v6, v6, 1.0                                  // 00000000C23C: D1010006 0001E506
	v_add_f32_e64 v7, v7, 1.0                                  // 00000000C244: D1010007 0001E507
	v_rcp_f32_e32 v4, v4                                       // 00000000C24C: 7E084504
	v_rcp_f32_e32 v5, v5                                       // 00000000C250: 7E0A4505
	v_rcp_f32_e32 v6, v6                                       // 00000000C254: 7E0C4506
	v_rcp_f32_e32 v7, v7                                       // 00000000C258: 7E0E4507
	v_mul_f32_e32 v128, v128, v4                               // 00000000C25C: 0B000980
	v_mul_f32_e32 v129, v129, v5                               // 00000000C260: 0B020B81
	v_mul_f32_e32 v130, v130, v6                               // 00000000C264: 0B040D82
	v_mul_f32_e32 v131, v131, v7                               // 00000000C268: 0B060F83
	v_mul_f32_e32 v128, v128, v168                             // 00000000C26C: 0B015180
	v_mul_f32_e32 v129, v129, v169                             // 00000000C270: 0B035381
	v_mul_f32_e32 v130, v130, v170                             // 00000000C274: 0B055582
	v_mul_f32_e32 v131, v131, v171                             // 00000000C278: 0B075783
	s_branch label_2763                                        // 00000000C27C: BF820140

000000000000c280 <label_2623>:
	v_mul_f32_e64 v4, -v92, s6                                 // 00000000C280: D1050004 20000D5C
	v_mul_f32_e64 v5, -v93, s6                                 // 00000000C288: D1050005 20000D5D
	v_mul_f32_e64 v6, -v94, s6                                 // 00000000C290: D1050006 20000D5E
	v_mul_f32_e64 v7, -v95, s6                                 // 00000000C298: D1050007 20000D5F
	v_exp_f32_e32 v4, v4                                       // 00000000C2A0: 7E084104
	v_exp_f32_e32 v5, v5                                       // 00000000C2A4: 7E0A4105
	v_exp_f32_e32 v6, v6                                       // 00000000C2A8: 7E0C4106
	v_exp_f32_e32 v7, v7                                       // 00000000C2AC: 7E0E4107
	v_add_f32_e64 v4, v4, 1.0                                  // 00000000C2B0: D1010004 0001E504
	v_add_f32_e64 v5, v5, 1.0                                  // 00000000C2B8: D1010005 0001E505
	v_add_f32_e64 v6, v6, 1.0                                  // 00000000C2C0: D1010006 0001E506
	v_add_f32_e64 v7, v7, 1.0                                  // 00000000C2C8: D1010007 0001E507
	v_rcp_f32_e32 v4, v4                                       // 00000000C2D0: 7E084504
	v_rcp_f32_e32 v5, v5                                       // 00000000C2D4: 7E0A4505
	v_rcp_f32_e32 v6, v6                                       // 00000000C2D8: 7E0C4506
	v_rcp_f32_e32 v7, v7                                       // 00000000C2DC: 7E0E4507
	v_mul_f32_e32 v92, v92, v4                                 // 00000000C2E0: 0AB8095C
	v_mul_f32_e32 v93, v93, v5                                 // 00000000C2E4: 0ABA0B5D
	v_mul_f32_e32 v94, v94, v6                                 // 00000000C2E8: 0ABC0D5E
	v_mul_f32_e32 v95, v95, v7                                 // 00000000C2EC: 0ABE0F5F
	v_mul_f32_e32 v92, v92, v132                               // 00000000C2F0: 0AB9095C
	v_mul_f32_e32 v93, v93, v133                               // 00000000C2F4: 0ABB0B5D
	v_mul_f32_e32 v94, v94, v134                               // 00000000C2F8: 0ABD0D5E
	v_mul_f32_e32 v95, v95, v135                               // 00000000C2FC: 0ABF0F5F
	v_mul_f32_e64 v4, -v96, s6                                 // 00000000C300: D1050004 20000D60
	v_mul_f32_e64 v5, -v97, s6                                 // 00000000C308: D1050005 20000D61
	v_mul_f32_e64 v6, -v98, s6                                 // 00000000C310: D1050006 20000D62
	v_mul_f32_e64 v7, -v99, s6                                 // 00000000C318: D1050007 20000D63
	v_exp_f32_e32 v4, v4                                       // 00000000C320: 7E084104
	v_exp_f32_e32 v5, v5                                       // 00000000C324: 7E0A4105
	v_exp_f32_e32 v6, v6                                       // 00000000C328: 7E0C4106
	v_exp_f32_e32 v7, v7                                       // 00000000C32C: 7E0E4107
	v_add_f32_e64 v4, v4, 1.0                                  // 00000000C330: D1010004 0001E504
	v_add_f32_e64 v5, v5, 1.0                                  // 00000000C338: D1010005 0001E505
	v_add_f32_e64 v6, v6, 1.0                                  // 00000000C340: D1010006 0001E506
	v_add_f32_e64 v7, v7, 1.0                                  // 00000000C348: D1010007 0001E507
	v_rcp_f32_e32 v4, v4                                       // 00000000C350: 7E084504
	v_rcp_f32_e32 v5, v5                                       // 00000000C354: 7E0A4505
	v_rcp_f32_e32 v6, v6                                       // 00000000C358: 7E0C4506
	v_rcp_f32_e32 v7, v7                                       // 00000000C35C: 7E0E4507
	v_mul_f32_e32 v96, v96, v4                                 // 00000000C360: 0AC00960
	v_mul_f32_e32 v97, v97, v5                                 // 00000000C364: 0AC20B61
	v_mul_f32_e32 v98, v98, v6                                 // 00000000C368: 0AC40D62
	v_mul_f32_e32 v99, v99, v7                                 // 00000000C36C: 0AC60F63
	v_mul_f32_e32 v96, v96, v136                               // 00000000C370: 0AC11160
	v_mul_f32_e32 v97, v97, v137                               // 00000000C374: 0AC31361
	v_mul_f32_e32 v98, v98, v138                               // 00000000C378: 0AC51562
	v_mul_f32_e32 v99, v99, v139                               // 00000000C37C: 0AC71763
	v_mul_f32_e64 v4, -v100, s6                                // 00000000C380: D1050004 20000D64
	v_mul_f32_e64 v5, -v101, s6                                // 00000000C388: D1050005 20000D65
	v_mul_f32_e64 v6, -v102, s6                                // 00000000C390: D1050006 20000D66
	v_mul_f32_e64 v7, -v103, s6                                // 00000000C398: D1050007 20000D67
	v_exp_f32_e32 v4, v4                                       // 00000000C3A0: 7E084104
	v_exp_f32_e32 v5, v5                                       // 00000000C3A4: 7E0A4105
	v_exp_f32_e32 v6, v6                                       // 00000000C3A8: 7E0C4106
	v_exp_f32_e32 v7, v7                                       // 00000000C3AC: 7E0E4107
	v_add_f32_e64 v4, v4, 1.0                                  // 00000000C3B0: D1010004 0001E504
	v_add_f32_e64 v5, v5, 1.0                                  // 00000000C3B8: D1010005 0001E505
	v_add_f32_e64 v6, v6, 1.0                                  // 00000000C3C0: D1010006 0001E506
	v_add_f32_e64 v7, v7, 1.0                                  // 00000000C3C8: D1010007 0001E507
	v_rcp_f32_e32 v4, v4                                       // 00000000C3D0: 7E084504
	v_rcp_f32_e32 v5, v5                                       // 00000000C3D4: 7E0A4505
	v_rcp_f32_e32 v6, v6                                       // 00000000C3D8: 7E0C4506
	v_rcp_f32_e32 v7, v7                                       // 00000000C3DC: 7E0E4507
	v_mul_f32_e32 v100, v100, v4                               // 00000000C3E0: 0AC80964
	v_mul_f32_e32 v101, v101, v5                               // 00000000C3E4: 0ACA0B65
	v_mul_f32_e32 v102, v102, v6                               // 00000000C3E8: 0ACC0D66
	v_mul_f32_e32 v103, v103, v7                               // 00000000C3EC: 0ACE0F67
	v_mul_f32_e32 v100, v100, v140                             // 00000000C3F0: 0AC91964
	v_mul_f32_e32 v101, v101, v141                             // 00000000C3F4: 0ACB1B65
	v_mul_f32_e32 v102, v102, v142                             // 00000000C3F8: 0ACD1D66
	v_mul_f32_e32 v103, v103, v143                             // 00000000C3FC: 0ACF1F67
	v_mul_f32_e64 v4, -v104, s6                                // 00000000C400: D1050004 20000D68
	v_mul_f32_e64 v5, -v105, s6                                // 00000000C408: D1050005 20000D69
	v_mul_f32_e64 v6, -v106, s6                                // 00000000C410: D1050006 20000D6A
	v_mul_f32_e64 v7, -v107, s6                                // 00000000C418: D1050007 20000D6B
	v_exp_f32_e32 v4, v4                                       // 00000000C420: 7E084104
	v_exp_f32_e32 v5, v5                                       // 00000000C424: 7E0A4105
	v_exp_f32_e32 v6, v6                                       // 00000000C428: 7E0C4106
	v_exp_f32_e32 v7, v7                                       // 00000000C42C: 7E0E4107
	v_add_f32_e64 v4, v4, 1.0                                  // 00000000C430: D1010004 0001E504
	v_add_f32_e64 v5, v5, 1.0                                  // 00000000C438: D1010005 0001E505
	v_add_f32_e64 v6, v6, 1.0                                  // 00000000C440: D1010006 0001E506
	v_add_f32_e64 v7, v7, 1.0                                  // 00000000C448: D1010007 0001E507
	v_rcp_f32_e32 v4, v4                                       // 00000000C450: 7E084504
	v_rcp_f32_e32 v5, v5                                       // 00000000C454: 7E0A4505
	v_rcp_f32_e32 v6, v6                                       // 00000000C458: 7E0C4506
	v_rcp_f32_e32 v7, v7                                       // 00000000C45C: 7E0E4507
	v_mul_f32_e32 v104, v104, v4                               // 00000000C460: 0AD00968
	v_mul_f32_e32 v105, v105, v5                               // 00000000C464: 0AD20B69
	v_mul_f32_e32 v106, v106, v6                               // 00000000C468: 0AD40D6A
	v_mul_f32_e32 v107, v107, v7                               // 00000000C46C: 0AD60F6B
	v_mul_f32_e32 v104, v104, v144                             // 00000000C470: 0AD12168
	v_mul_f32_e32 v105, v105, v145                             // 00000000C474: 0AD32369
	v_mul_f32_e32 v106, v106, v146                             // 00000000C478: 0AD5256A
	v_mul_f32_e32 v107, v107, v147                             // 00000000C47C: 0AD7276B
	v_mul_f32_e64 v4, -v108, s6                                // 00000000C480: D1050004 20000D6C
	v_mul_f32_e64 v5, -v109, s6                                // 00000000C488: D1050005 20000D6D
	v_mul_f32_e64 v6, -v110, s6                                // 00000000C490: D1050006 20000D6E
	v_mul_f32_e64 v7, -v111, s6                                // 00000000C498: D1050007 20000D6F
	v_exp_f32_e32 v4, v4                                       // 00000000C4A0: 7E084104
	v_exp_f32_e32 v5, v5                                       // 00000000C4A4: 7E0A4105
	v_exp_f32_e32 v6, v6                                       // 00000000C4A8: 7E0C4106
	v_exp_f32_e32 v7, v7                                       // 00000000C4AC: 7E0E4107
	v_add_f32_e64 v4, v4, 1.0                                  // 00000000C4B0: D1010004 0001E504
	v_add_f32_e64 v5, v5, 1.0                                  // 00000000C4B8: D1010005 0001E505
	v_add_f32_e64 v6, v6, 1.0                                  // 00000000C4C0: D1010006 0001E506
	v_add_f32_e64 v7, v7, 1.0                                  // 00000000C4C8: D1010007 0001E507
	v_rcp_f32_e32 v4, v4                                       // 00000000C4D0: 7E084504
	v_rcp_f32_e32 v5, v5                                       // 00000000C4D4: 7E0A4505
	v_rcp_f32_e32 v6, v6                                       // 00000000C4D8: 7E0C4506
	v_rcp_f32_e32 v7, v7                                       // 00000000C4DC: 7E0E4507
	v_mul_f32_e32 v108, v108, v4                               // 00000000C4E0: 0AD8096C
	v_mul_f32_e32 v109, v109, v5                               // 00000000C4E4: 0ADA0B6D
	v_mul_f32_e32 v110, v110, v6                               // 00000000C4E8: 0ADC0D6E
	v_mul_f32_e32 v111, v111, v7                               // 00000000C4EC: 0ADE0F6F
	v_mul_f32_e32 v108, v108, v148                             // 00000000C4F0: 0AD9296C
	v_mul_f32_e32 v109, v109, v149                             // 00000000C4F4: 0ADB2B6D
	v_mul_f32_e32 v110, v110, v150                             // 00000000C4F8: 0ADD2D6E
	v_mul_f32_e32 v111, v111, v151                             // 00000000C4FC: 0ADF2F6F
	v_mul_f32_e64 v4, -v112, s6                                // 00000000C500: D1050004 20000D70
	v_mul_f32_e64 v5, -v113, s6                                // 00000000C508: D1050005 20000D71
	v_mul_f32_e64 v6, -v114, s6                                // 00000000C510: D1050006 20000D72
	v_mul_f32_e64 v7, -v115, s6                                // 00000000C518: D1050007 20000D73
	v_exp_f32_e32 v4, v4                                       // 00000000C520: 7E084104
	v_exp_f32_e32 v5, v5                                       // 00000000C524: 7E0A4105
	v_exp_f32_e32 v6, v6                                       // 00000000C528: 7E0C4106
	v_exp_f32_e32 v7, v7                                       // 00000000C52C: 7E0E4107
	v_add_f32_e64 v4, v4, 1.0                                  // 00000000C530: D1010004 0001E504
	v_add_f32_e64 v5, v5, 1.0                                  // 00000000C538: D1010005 0001E505
	v_add_f32_e64 v6, v6, 1.0                                  // 00000000C540: D1010006 0001E506
	v_add_f32_e64 v7, v7, 1.0                                  // 00000000C548: D1010007 0001E507
	v_rcp_f32_e32 v4, v4                                       // 00000000C550: 7E084504
	v_rcp_f32_e32 v5, v5                                       // 00000000C554: 7E0A4505
	v_rcp_f32_e32 v6, v6                                       // 00000000C558: 7E0C4506
	v_rcp_f32_e32 v7, v7                                       // 00000000C55C: 7E0E4507
	v_mul_f32_e32 v112, v112, v4                               // 00000000C560: 0AE00970
	v_mul_f32_e32 v113, v113, v5                               // 00000000C564: 0AE20B71
	v_mul_f32_e32 v114, v114, v6                               // 00000000C568: 0AE40D72
	v_mul_f32_e32 v115, v115, v7                               // 00000000C56C: 0AE60F73
	v_mul_f32_e32 v112, v112, v152                             // 00000000C570: 0AE13170
	v_mul_f32_e32 v113, v113, v153                             // 00000000C574: 0AE33371
	v_mul_f32_e32 v114, v114, v154                             // 00000000C578: 0AE53572
	v_mul_f32_e32 v115, v115, v155                             // 00000000C57C: 0AE73773
	v_mul_f32_e64 v4, -v116, s6                                // 00000000C580: D1050004 20000D74
	v_mul_f32_e64 v5, -v117, s6                                // 00000000C588: D1050005 20000D75
	v_mul_f32_e64 v6, -v118, s6                                // 00000000C590: D1050006 20000D76
	v_mul_f32_e64 v7, -v119, s6                                // 00000000C598: D1050007 20000D77
	v_exp_f32_e32 v4, v4                                       // 00000000C5A0: 7E084104
	v_exp_f32_e32 v5, v5                                       // 00000000C5A4: 7E0A4105
	v_exp_f32_e32 v6, v6                                       // 00000000C5A8: 7E0C4106
	v_exp_f32_e32 v7, v7                                       // 00000000C5AC: 7E0E4107
	v_add_f32_e64 v4, v4, 1.0                                  // 00000000C5B0: D1010004 0001E504
	v_add_f32_e64 v5, v5, 1.0                                  // 00000000C5B8: D1010005 0001E505
	v_add_f32_e64 v6, v6, 1.0                                  // 00000000C5C0: D1010006 0001E506
	v_add_f32_e64 v7, v7, 1.0                                  // 00000000C5C8: D1010007 0001E507
	v_rcp_f32_e32 v4, v4                                       // 00000000C5D0: 7E084504
	v_rcp_f32_e32 v5, v5                                       // 00000000C5D4: 7E0A4505
	v_rcp_f32_e32 v6, v6                                       // 00000000C5D8: 7E0C4506
	v_rcp_f32_e32 v7, v7                                       // 00000000C5DC: 7E0E4507
	v_mul_f32_e32 v116, v116, v4                               // 00000000C5E0: 0AE80974
	v_mul_f32_e32 v117, v117, v5                               // 00000000C5E4: 0AEA0B75
	v_mul_f32_e32 v118, v118, v6                               // 00000000C5E8: 0AEC0D76
	v_mul_f32_e32 v119, v119, v7                               // 00000000C5EC: 0AEE0F77
	v_mul_f32_e32 v116, v116, v156                             // 00000000C5F0: 0AE93974
	v_mul_f32_e32 v117, v117, v157                             // 00000000C5F4: 0AEB3B75
	v_mul_f32_e32 v118, v118, v158                             // 00000000C5F8: 0AED3D76
	v_mul_f32_e32 v119, v119, v159                             // 00000000C5FC: 0AEF3F77
	v_mul_f32_e64 v4, -v120, s6                                // 00000000C600: D1050004 20000D78
	v_mul_f32_e64 v5, -v121, s6                                // 00000000C608: D1050005 20000D79
	v_mul_f32_e64 v6, -v122, s6                                // 00000000C610: D1050006 20000D7A
	v_mul_f32_e64 v7, -v123, s6                                // 00000000C618: D1050007 20000D7B
	v_exp_f32_e32 v4, v4                                       // 00000000C620: 7E084104
	v_exp_f32_e32 v5, v5                                       // 00000000C624: 7E0A4105
	v_exp_f32_e32 v6, v6                                       // 00000000C628: 7E0C4106
	v_exp_f32_e32 v7, v7                                       // 00000000C62C: 7E0E4107
	v_add_f32_e64 v4, v4, 1.0                                  // 00000000C630: D1010004 0001E504
	v_add_f32_e64 v5, v5, 1.0                                  // 00000000C638: D1010005 0001E505
	v_add_f32_e64 v6, v6, 1.0                                  // 00000000C640: D1010006 0001E506
	v_add_f32_e64 v7, v7, 1.0                                  // 00000000C648: D1010007 0001E507
	v_rcp_f32_e32 v4, v4                                       // 00000000C650: 7E084504
	v_rcp_f32_e32 v5, v5                                       // 00000000C654: 7E0A4505
	v_rcp_f32_e32 v6, v6                                       // 00000000C658: 7E0C4506
	v_rcp_f32_e32 v7, v7                                       // 00000000C65C: 7E0E4507
	v_mul_f32_e32 v120, v120, v4                               // 00000000C660: 0AF00978
	v_mul_f32_e32 v121, v121, v5                               // 00000000C664: 0AF20B79
	v_mul_f32_e32 v122, v122, v6                               // 00000000C668: 0AF40D7A
	v_mul_f32_e32 v123, v123, v7                               // 00000000C66C: 0AF60F7B
	v_mul_f32_e32 v120, v120, v160                             // 00000000C670: 0AF14178
	v_mul_f32_e32 v121, v121, v161                             // 00000000C674: 0AF34379
	v_mul_f32_e32 v122, v122, v162                             // 00000000C678: 0AF5457A
	v_mul_f32_e32 v123, v123, v163                             // 00000000C67C: 0AF7477B
	v_mul_f32_e64 v4, -v124, s6                                // 00000000C680: D1050004 20000D7C
	v_mul_f32_e64 v5, -v125, s6                                // 00000000C688: D1050005 20000D7D
	v_mul_f32_e64 v6, -v126, s6                                // 00000000C690: D1050006 20000D7E
	v_mul_f32_e64 v7, -v127, s6                                // 00000000C698: D1050007 20000D7F
	v_exp_f32_e32 v4, v4                                       // 00000000C6A0: 7E084104
	v_exp_f32_e32 v5, v5                                       // 00000000C6A4: 7E0A4105
	v_exp_f32_e32 v6, v6                                       // 00000000C6A8: 7E0C4106
	v_exp_f32_e32 v7, v7                                       // 00000000C6AC: 7E0E4107
	v_add_f32_e64 v4, v4, 1.0                                  // 00000000C6B0: D1010004 0001E504
	v_add_f32_e64 v5, v5, 1.0                                  // 00000000C6B8: D1010005 0001E505
	v_add_f32_e64 v6, v6, 1.0                                  // 00000000C6C0: D1010006 0001E506
	v_add_f32_e64 v7, v7, 1.0                                  // 00000000C6C8: D1010007 0001E507
	v_rcp_f32_e32 v4, v4                                       // 00000000C6D0: 7E084504
	v_rcp_f32_e32 v5, v5                                       // 00000000C6D4: 7E0A4505
	v_rcp_f32_e32 v6, v6                                       // 00000000C6D8: 7E0C4506
	v_rcp_f32_e32 v7, v7                                       // 00000000C6DC: 7E0E4507
	v_mul_f32_e32 v124, v124, v4                               // 00000000C6E0: 0AF8097C
	v_mul_f32_e32 v125, v125, v5                               // 00000000C6E4: 0AFA0B7D
	v_mul_f32_e32 v126, v126, v6                               // 00000000C6E8: 0AFC0D7E
	v_mul_f32_e32 v127, v127, v7                               // 00000000C6EC: 0AFE0F7F
	v_mul_f32_e32 v124, v124, v164                             // 00000000C6F0: 0AF9497C
	v_mul_f32_e32 v125, v125, v165                             // 00000000C6F4: 0AFB4B7D
	v_mul_f32_e32 v126, v126, v166                             // 00000000C6F8: 0AFD4D7E
	v_mul_f32_e32 v127, v127, v167                             // 00000000C6FC: 0AFF4F7F
	v_mul_f32_e64 v4, -v128, s6                                // 00000000C700: D1050004 20000D80
	v_mul_f32_e64 v5, -v129, s6                                // 00000000C708: D1050005 20000D81
	v_mul_f32_e64 v6, -v130, s6                                // 00000000C710: D1050006 20000D82
	v_mul_f32_e64 v7, -v131, s6                                // 00000000C718: D1050007 20000D83
	v_exp_f32_e32 v4, v4                                       // 00000000C720: 7E084104
	v_exp_f32_e32 v5, v5                                       // 00000000C724: 7E0A4105
	v_exp_f32_e32 v6, v6                                       // 00000000C728: 7E0C4106
	v_exp_f32_e32 v7, v7                                       // 00000000C72C: 7E0E4107
	v_add_f32_e64 v4, v4, 1.0                                  // 00000000C730: D1010004 0001E504
	v_add_f32_e64 v5, v5, 1.0                                  // 00000000C738: D1010005 0001E505
	v_add_f32_e64 v6, v6, 1.0                                  // 00000000C740: D1010006 0001E506
	v_add_f32_e64 v7, v7, 1.0                                  // 00000000C748: D1010007 0001E507
	v_rcp_f32_e32 v4, v4                                       // 00000000C750: 7E084504
	v_rcp_f32_e32 v5, v5                                       // 00000000C754: 7E0A4505
	v_rcp_f32_e32 v6, v6                                       // 00000000C758: 7E0C4506
	v_rcp_f32_e32 v7, v7                                       // 00000000C75C: 7E0E4507
	v_mul_f32_e32 v128, v128, v4                               // 00000000C760: 0B000980
	v_mul_f32_e32 v129, v129, v5                               // 00000000C764: 0B020B81
	v_mul_f32_e32 v130, v130, v6                               // 00000000C768: 0B040D82
	v_mul_f32_e32 v131, v131, v7                               // 00000000C76C: 0B060F83
	v_mul_f32_e32 v128, v128, v168                             // 00000000C770: 0B015180
	v_mul_f32_e32 v129, v129, v169                             // 00000000C774: 0B035381
	v_mul_f32_e32 v130, v130, v170                             // 00000000C778: 0B055582
	v_mul_f32_e32 v131, v131, v171                             // 00000000C77C: 0B075783

000000000000c780 <label_2763>:
	v_cmp_u_f32_e64 s[46:47], v92, v92                         // 00000000C780: D048002E 0002B95C
	v_add3_u32 v16, v92, v19, 1                                // 00000000C788: D1FF0010 0206275C
	v_cndmask_b32_e64 v4, v16, v18, s[46:47]                   // 00000000C790: D1000004 00BA2510
	v_cmp_u_f32_e64 s[46:47], v93, v93                         // 00000000C798: D048002E 0002BB5D
	v_add3_u32 v16, v93, v19, 1                                // 00000000C7A0: D1FF0010 0206275D
	v_cndmask_b32_e64 v5, v16, v18, s[46:47]                   // 00000000C7A8: D1000005 00BA2510
	v_perm_b32 v92, v5, v4, s52                                // 00000000C7B0: D1ED005C 00D20905
	v_cmp_u_f32_e64 s[46:47], v94, v94                         // 00000000C7B8: D048002E 0002BD5E
	v_add3_u32 v16, v94, v19, 1                                // 00000000C7C0: D1FF0010 0206275E
	v_cndmask_b32_e64 v4, v16, v18, s[46:47]                   // 00000000C7C8: D1000004 00BA2510
	v_cmp_u_f32_e64 s[46:47], v95, v95                         // 00000000C7D0: D048002E 0002BF5F
	v_add3_u32 v16, v95, v19, 1                                // 00000000C7D8: D1FF0010 0206275F
	v_cndmask_b32_e64 v5, v16, v18, s[46:47]                   // 00000000C7E0: D1000005 00BA2510
	v_perm_b32 v93, v5, v4, s52                                // 00000000C7E8: D1ED005D 00D20905
	v_cmp_u_f32_e64 s[46:47], v96, v96                         // 00000000C7F0: D048002E 0002C160
	v_add3_u32 v16, v96, v19, 1                                // 00000000C7F8: D1FF0010 02062760
	v_cndmask_b32_e64 v4, v16, v18, s[46:47]                   // 00000000C800: D1000004 00BA2510
	v_cmp_u_f32_e64 s[46:47], v97, v97                         // 00000000C808: D048002E 0002C361
	v_add3_u32 v16, v97, v19, 1                                // 00000000C810: D1FF0010 02062761
	v_cndmask_b32_e64 v5, v16, v18, s[46:47]                   // 00000000C818: D1000005 00BA2510
	v_perm_b32 v94, v5, v4, s52                                // 00000000C820: D1ED005E 00D20905
	v_cmp_u_f32_e64 s[46:47], v98, v98                         // 00000000C828: D048002E 0002C562
	v_add3_u32 v16, v98, v19, 1                                // 00000000C830: D1FF0010 02062762
	v_cndmask_b32_e64 v4, v16, v18, s[46:47]                   // 00000000C838: D1000004 00BA2510
	v_cmp_u_f32_e64 s[46:47], v99, v99                         // 00000000C840: D048002E 0002C763
	v_add3_u32 v16, v99, v19, 1                                // 00000000C848: D1FF0010 02062763
	v_cndmask_b32_e64 v5, v16, v18, s[46:47]                   // 00000000C850: D1000005 00BA2510
	v_perm_b32 v95, v5, v4, s52                                // 00000000C858: D1ED005F 00D20905
	v_cmp_u_f32_e64 s[46:47], v100, v100                       // 00000000C860: D048002E 0002C964
	v_add3_u32 v16, v100, v19, 1                               // 00000000C868: D1FF0010 02062764
	v_cndmask_b32_e64 v4, v16, v18, s[46:47]                   // 00000000C870: D1000004 00BA2510
	v_cmp_u_f32_e64 s[46:47], v101, v101                       // 00000000C878: D048002E 0002CB65
	v_add3_u32 v16, v101, v19, 1                               // 00000000C880: D1FF0010 02062765
	v_cndmask_b32_e64 v5, v16, v18, s[46:47]                   // 00000000C888: D1000005 00BA2510
	v_perm_b32 v96, v5, v4, s52                                // 00000000C890: D1ED0060 00D20905
	v_cmp_u_f32_e64 s[46:47], v102, v102                       // 00000000C898: D048002E 0002CD66
	v_add3_u32 v16, v102, v19, 1                               // 00000000C8A0: D1FF0010 02062766
	v_cndmask_b32_e64 v4, v16, v18, s[46:47]                   // 00000000C8A8: D1000004 00BA2510
	v_cmp_u_f32_e64 s[46:47], v103, v103                       // 00000000C8B0: D048002E 0002CF67
	v_add3_u32 v16, v103, v19, 1                               // 00000000C8B8: D1FF0010 02062767
	v_cndmask_b32_e64 v5, v16, v18, s[46:47]                   // 00000000C8C0: D1000005 00BA2510
	v_perm_b32 v97, v5, v4, s52                                // 00000000C8C8: D1ED0061 00D20905
	v_cmp_u_f32_e64 s[46:47], v104, v104                       // 00000000C8D0: D048002E 0002D168
	v_add3_u32 v16, v104, v19, 1                               // 00000000C8D8: D1FF0010 02062768
	v_cndmask_b32_e64 v4, v16, v18, s[46:47]                   // 00000000C8E0: D1000004 00BA2510
	v_cmp_u_f32_e64 s[46:47], v105, v105                       // 00000000C8E8: D048002E 0002D369
	v_add3_u32 v16, v105, v19, 1                               // 00000000C8F0: D1FF0010 02062769
	v_cndmask_b32_e64 v5, v16, v18, s[46:47]                   // 00000000C8F8: D1000005 00BA2510
	v_perm_b32 v98, v5, v4, s52                                // 00000000C900: D1ED0062 00D20905
	v_cmp_u_f32_e64 s[46:47], v106, v106                       // 00000000C908: D048002E 0002D56A
	v_add3_u32 v16, v106, v19, 1                               // 00000000C910: D1FF0010 0206276A
	v_cndmask_b32_e64 v4, v16, v18, s[46:47]                   // 00000000C918: D1000004 00BA2510
	v_cmp_u_f32_e64 s[46:47], v107, v107                       // 00000000C920: D048002E 0002D76B
	v_add3_u32 v16, v107, v19, 1                               // 00000000C928: D1FF0010 0206276B
	v_cndmask_b32_e64 v5, v16, v18, s[46:47]                   // 00000000C930: D1000005 00BA2510
	v_perm_b32 v99, v5, v4, s52                                // 00000000C938: D1ED0063 00D20905
	v_cmp_u_f32_e64 s[46:47], v108, v108                       // 00000000C940: D048002E 0002D96C
	v_add3_u32 v16, v108, v19, 1                               // 00000000C948: D1FF0010 0206276C
	v_cndmask_b32_e64 v4, v16, v18, s[46:47]                   // 00000000C950: D1000004 00BA2510
	v_cmp_u_f32_e64 s[46:47], v109, v109                       // 00000000C958: D048002E 0002DB6D
	v_add3_u32 v16, v109, v19, 1                               // 00000000C960: D1FF0010 0206276D
	v_cndmask_b32_e64 v5, v16, v18, s[46:47]                   // 00000000C968: D1000005 00BA2510
	v_perm_b32 v100, v5, v4, s52                               // 00000000C970: D1ED0064 00D20905
	v_cmp_u_f32_e64 s[46:47], v110, v110                       // 00000000C978: D048002E 0002DD6E
	v_add3_u32 v16, v110, v19, 1                               // 00000000C980: D1FF0010 0206276E
	v_cndmask_b32_e64 v4, v16, v18, s[46:47]                   // 00000000C988: D1000004 00BA2510
	v_cmp_u_f32_e64 s[46:47], v111, v111                       // 00000000C990: D048002E 0002DF6F
	v_add3_u32 v16, v111, v19, 1                               // 00000000C998: D1FF0010 0206276F
	v_cndmask_b32_e64 v5, v16, v18, s[46:47]                   // 00000000C9A0: D1000005 00BA2510
	v_perm_b32 v101, v5, v4, s52                               // 00000000C9A8: D1ED0065 00D20905
	v_cmp_u_f32_e64 s[46:47], v112, v112                       // 00000000C9B0: D048002E 0002E170
	v_add3_u32 v16, v112, v19, 1                               // 00000000C9B8: D1FF0010 02062770
	v_cndmask_b32_e64 v4, v16, v18, s[46:47]                   // 00000000C9C0: D1000004 00BA2510
	v_cmp_u_f32_e64 s[46:47], v113, v113                       // 00000000C9C8: D048002E 0002E371
	v_add3_u32 v16, v113, v19, 1                               // 00000000C9D0: D1FF0010 02062771
	v_cndmask_b32_e64 v5, v16, v18, s[46:47]                   // 00000000C9D8: D1000005 00BA2510
	v_perm_b32 v102, v5, v4, s52                               // 00000000C9E0: D1ED0066 00D20905
	v_cmp_u_f32_e64 s[46:47], v114, v114                       // 00000000C9E8: D048002E 0002E572
	v_add3_u32 v16, v114, v19, 1                               // 00000000C9F0: D1FF0010 02062772
	v_cndmask_b32_e64 v4, v16, v18, s[46:47]                   // 00000000C9F8: D1000004 00BA2510
	v_cmp_u_f32_e64 s[46:47], v115, v115                       // 00000000CA00: D048002E 0002E773
	v_add3_u32 v16, v115, v19, 1                               // 00000000CA08: D1FF0010 02062773
	v_cndmask_b32_e64 v5, v16, v18, s[46:47]                   // 00000000CA10: D1000005 00BA2510
	v_perm_b32 v103, v5, v4, s52                               // 00000000CA18: D1ED0067 00D20905
	v_cmp_u_f32_e64 s[46:47], v116, v116                       // 00000000CA20: D048002E 0002E974
	v_add3_u32 v16, v116, v19, 1                               // 00000000CA28: D1FF0010 02062774
	v_cndmask_b32_e64 v4, v16, v18, s[46:47]                   // 00000000CA30: D1000004 00BA2510
	v_cmp_u_f32_e64 s[46:47], v117, v117                       // 00000000CA38: D048002E 0002EB75
	v_add3_u32 v16, v117, v19, 1                               // 00000000CA40: D1FF0010 02062775
	v_cndmask_b32_e64 v5, v16, v18, s[46:47]                   // 00000000CA48: D1000005 00BA2510
	v_perm_b32 v104, v5, v4, s52                               // 00000000CA50: D1ED0068 00D20905
	v_cmp_u_f32_e64 s[46:47], v118, v118                       // 00000000CA58: D048002E 0002ED76
	v_add3_u32 v16, v118, v19, 1                               // 00000000CA60: D1FF0010 02062776
	v_cndmask_b32_e64 v4, v16, v18, s[46:47]                   // 00000000CA68: D1000004 00BA2510
	v_cmp_u_f32_e64 s[46:47], v119, v119                       // 00000000CA70: D048002E 0002EF77
	v_add3_u32 v16, v119, v19, 1                               // 00000000CA78: D1FF0010 02062777
	v_cndmask_b32_e64 v5, v16, v18, s[46:47]                   // 00000000CA80: D1000005 00BA2510
	v_perm_b32 v105, v5, v4, s52                               // 00000000CA88: D1ED0069 00D20905
	v_cmp_u_f32_e64 s[46:47], v120, v120                       // 00000000CA90: D048002E 0002F178
	v_add3_u32 v16, v120, v19, 1                               // 00000000CA98: D1FF0010 02062778
	v_cndmask_b32_e64 v4, v16, v18, s[46:47]                   // 00000000CAA0: D1000004 00BA2510
	v_cmp_u_f32_e64 s[46:47], v121, v121                       // 00000000CAA8: D048002E 0002F379
	v_add3_u32 v16, v121, v19, 1                               // 00000000CAB0: D1FF0010 02062779
	v_cndmask_b32_e64 v5, v16, v18, s[46:47]                   // 00000000CAB8: D1000005 00BA2510
	v_perm_b32 v106, v5, v4, s52                               // 00000000CAC0: D1ED006A 00D20905
	v_cmp_u_f32_e64 s[46:47], v122, v122                       // 00000000CAC8: D048002E 0002F57A
	v_add3_u32 v16, v122, v19, 1                               // 00000000CAD0: D1FF0010 0206277A
	v_cndmask_b32_e64 v4, v16, v18, s[46:47]                   // 00000000CAD8: D1000004 00BA2510
	v_cmp_u_f32_e64 s[46:47], v123, v123                       // 00000000CAE0: D048002E 0002F77B
	v_add3_u32 v16, v123, v19, 1                               // 00000000CAE8: D1FF0010 0206277B
	v_cndmask_b32_e64 v5, v16, v18, s[46:47]                   // 00000000CAF0: D1000005 00BA2510
	v_perm_b32 v107, v5, v4, s52                               // 00000000CAF8: D1ED006B 00D20905
	v_cmp_u_f32_e64 s[46:47], v124, v124                       // 00000000CB00: D048002E 0002F97C
	v_add3_u32 v16, v124, v19, 1                               // 00000000CB08: D1FF0010 0206277C
	v_cndmask_b32_e64 v4, v16, v18, s[46:47]                   // 00000000CB10: D1000004 00BA2510
	v_cmp_u_f32_e64 s[46:47], v125, v125                       // 00000000CB18: D048002E 0002FB7D
	v_add3_u32 v16, v125, v19, 1                               // 00000000CB20: D1FF0010 0206277D
	v_cndmask_b32_e64 v5, v16, v18, s[46:47]                   // 00000000CB28: D1000005 00BA2510
	v_perm_b32 v108, v5, v4, s52                               // 00000000CB30: D1ED006C 00D20905
	v_cmp_u_f32_e64 s[46:47], v126, v126                       // 00000000CB38: D048002E 0002FD7E
	v_add3_u32 v16, v126, v19, 1                               // 00000000CB40: D1FF0010 0206277E
	v_cndmask_b32_e64 v4, v16, v18, s[46:47]                   // 00000000CB48: D1000004 00BA2510
	v_cmp_u_f32_e64 s[46:47], v127, v127                       // 00000000CB50: D048002E 0002FF7F
	v_add3_u32 v16, v127, v19, 1                               // 00000000CB58: D1FF0010 0206277F
	v_cndmask_b32_e64 v5, v16, v18, s[46:47]                   // 00000000CB60: D1000005 00BA2510
	v_perm_b32 v109, v5, v4, s52                               // 00000000CB68: D1ED006D 00D20905
	v_cmp_u_f32_e64 s[46:47], v128, v128                       // 00000000CB70: D048002E 00030180
	v_add3_u32 v16, v128, v19, 1                               // 00000000CB78: D1FF0010 02062780
	v_cndmask_b32_e64 v4, v16, v18, s[46:47]                   // 00000000CB80: D1000004 00BA2510
	v_cmp_u_f32_e64 s[46:47], v129, v129                       // 00000000CB88: D048002E 00030381
	v_add3_u32 v16, v129, v19, 1                               // 00000000CB90: D1FF0010 02062781
	v_cndmask_b32_e64 v5, v16, v18, s[46:47]                   // 00000000CB98: D1000005 00BA2510
	v_perm_b32 v110, v5, v4, s52                               // 00000000CBA0: D1ED006E 00D20905
	v_cmp_u_f32_e64 s[46:47], v130, v130                       // 00000000CBA8: D048002E 00030582
	v_add3_u32 v16, v130, v19, 1                               // 00000000CBB0: D1FF0010 02062782
	v_cndmask_b32_e64 v4, v16, v18, s[46:47]                   // 00000000CBB8: D1000004 00BA2510
	v_cmp_u_f32_e64 s[46:47], v131, v131                       // 00000000CBC0: D048002E 00030783
	v_add3_u32 v16, v131, v19, 1                               // 00000000CBC8: D1FF0010 02062783
	v_cndmask_b32_e64 v5, v16, v18, s[46:47]                   // 00000000CBD0: D1000005 00BA2510
	v_perm_b32 v111, v5, v4, s52                               // 00000000CBD8: D1ED006F 00D20905
	ds_write_b64 v20, v[92:93]                                 // 00000000CBE0: D89A0000 00005C14
	ds_write_b64 v20, v[94:95] offset:2176                     // 00000000CBE8: D89A0880 00005E14
	ds_write_b64 v20, v[96:97] offset:4352                     // 00000000CBF0: D89A1100 00006014
	ds_write_b64 v20, v[98:99] offset:6528                     // 00000000CBF8: D89A1980 00006214
	ds_write_b64 v20, v[100:101] offset:8704                   // 00000000CC00: D89A2200 00006414
	ds_write_b64 v20, v[102:103] offset:10880                  // 00000000CC08: D89A2A80 00006614
	ds_write_b64 v20, v[104:105] offset:13056                  // 00000000CC10: D89A3300 00006814
	ds_write_b64 v20, v[106:107] offset:15232                  // 00000000CC18: D89A3B80 00006A14
	ds_write_b64 v20, v[108:109] offset:17408                  // 00000000CC20: D89A4400 00006C14
	ds_write_b64 v20, v[110:111] offset:19584                  // 00000000CC28: D89A4C80 00006E14
	v_lshrrev_b32_e32 v4, 5, v0                                // 00000000CC30: 20080085
	v_xor_b32_e32 v5, 1, v4                                    // 00000000CC34: 2A0A0881
	s_mul_i32 s60, s65, 2                                      // 00000000CC38: 923C8241
	s_cmp_eq_u32 s88, 0                                        // 00000000CC3C: BF068058
	s_cselect_b32 s61, 1, 4                                    // 00000000CC40: 853D8481
	s_mul_i32 s60, s61, s60                                    // 00000000CC44: 923C3C3D
	v_readlane_b32 s82, v3, 0                                  // 00000000CC48: D2890052 00010103
	s_lshr_b32 s61, s82, 24                                    // 00000000CC50: 8F3D9852
	s_and_b32 s82, s82, 0xffffff                               // 00000000CC54: 8652FF52 00FFFFFF
	s_mul_i32 s82, s82, s71                                    // 00000000CC5C: 92524752
	s_mul_i32 s61, s60, s61                                    // 00000000CC60: 923D3D3C
	s_add_u32 s82, s82, s61                                    // 00000000CC64: 80523D52
	v_mul_lo_u32 v6, v5, s82                                   // 00000000CC68: D2850006 0000A505
	v_readlane_b32 s82, v3, 1                                  // 00000000CC70: D2890052 00010303
	s_lshr_b32 s61, s82, 24                                    // 00000000CC78: 8F3D9852
	s_and_b32 s82, s82, 0xffffff                               // 00000000CC7C: 8652FF52 00FFFFFF
	s_mul_i32 s82, s82, s71                                    // 00000000CC84: 92524752
	s_mul_i32 s61, s60, s61                                    // 00000000CC88: 923D3D3C
	s_add_u32 s82, s82, s61                                    // 00000000CC8C: 80523D52
	v_mul_lo_u32 v7, v4, s82                                   // 00000000CC90: D2850007 0000A504
	v_add_u32_e32 v70, v6, v7                                  // 00000000CC98: 688C0F06
	v_readlane_b32 s82, v3, 2                                  // 00000000CC9C: D2890052 00010503
	s_lshr_b32 s61, s82, 24                                    // 00000000CCA4: 8F3D9852
	s_and_b32 s82, s82, 0xffffff                               // 00000000CCA8: 8652FF52 00FFFFFF
	s_mul_i32 s82, s82, s71                                    // 00000000CCB0: 92524752
	s_mul_i32 s61, s60, s61                                    // 00000000CCB4: 923D3D3C
	s_add_u32 s82, s82, s61                                    // 00000000CCB8: 80523D52
	v_mul_lo_u32 v6, v5, s82                                   // 00000000CCBC: D2850006 0000A505
	v_readlane_b32 s82, v3, 3                                  // 00000000CCC4: D2890052 00010703
	s_lshr_b32 s61, s82, 24                                    // 00000000CCCC: 8F3D9852
	s_and_b32 s82, s82, 0xffffff                               // 00000000CCD0: 8652FF52 00FFFFFF
	s_mul_i32 s82, s82, s71                                    // 00000000CCD8: 92524752
	s_mul_i32 s61, s60, s61                                    // 00000000CCDC: 923D3D3C
	s_add_u32 s82, s82, s61                                    // 00000000CCE0: 80523D52
	v_mul_lo_u32 v7, v4, s82                                   // 00000000CCE4: D2850007 0000A504
	v_add_u32_e32 v71, v6, v7                                  // 00000000CCEC: 688E0F06
	v_readlane_b32 s82, v3, 4                                  // 00000000CCF0: D2890052 00010903
	s_lshr_b32 s61, s82, 24                                    // 00000000CCF8: 8F3D9852
	s_and_b32 s82, s82, 0xffffff                               // 00000000CCFC: 8652FF52 00FFFFFF
	s_mul_i32 s82, s82, s71                                    // 00000000CD04: 92524752
	s_mul_i32 s61, s60, s61                                    // 00000000CD08: 923D3D3C
	s_add_u32 s82, s82, s61                                    // 00000000CD0C: 80523D52
	v_mul_lo_u32 v6, v5, s82                                   // 00000000CD10: D2850006 0000A505
	v_readlane_b32 s82, v3, 5                                  // 00000000CD18: D2890052 00010B03
	s_lshr_b32 s61, s82, 24                                    // 00000000CD20: 8F3D9852
	s_and_b32 s82, s82, 0xffffff                               // 00000000CD24: 8652FF52 00FFFFFF
	s_mul_i32 s82, s82, s71                                    // 00000000CD2C: 92524752
	s_mul_i32 s61, s60, s61                                    // 00000000CD30: 923D3D3C
	s_add_u32 s82, s82, s61                                    // 00000000CD34: 80523D52
	v_mul_lo_u32 v7, v4, s82                                   // 00000000CD38: D2850007 0000A504
	v_add_u32_e32 v72, v6, v7                                  // 00000000CD40: 68900F06
	v_readlane_b32 s82, v3, 6                                  // 00000000CD44: D2890052 00010D03
	s_lshr_b32 s61, s82, 24                                    // 00000000CD4C: 8F3D9852
	s_and_b32 s82, s82, 0xffffff                               // 00000000CD50: 8652FF52 00FFFFFF
	s_mul_i32 s82, s82, s71                                    // 00000000CD58: 92524752
	s_mul_i32 s61, s60, s61                                    // 00000000CD5C: 923D3D3C
	s_add_u32 s82, s82, s61                                    // 00000000CD60: 80523D52
	v_mul_lo_u32 v6, v5, s82                                   // 00000000CD64: D2850006 0000A505
	v_readlane_b32 s82, v3, 7                                  // 00000000CD6C: D2890052 00010F03
	s_lshr_b32 s61, s82, 24                                    // 00000000CD74: 8F3D9852
	s_and_b32 s82, s82, 0xffffff                               // 00000000CD78: 8652FF52 00FFFFFF
	s_mul_i32 s82, s82, s71                                    // 00000000CD80: 92524752
	s_mul_i32 s61, s60, s61                                    // 00000000CD84: 923D3D3C
	s_add_u32 s82, s82, s61                                    // 00000000CD88: 80523D52
	v_mul_lo_u32 v7, v4, s82                                   // 00000000CD8C: D2850007 0000A504
	v_add_u32_e32 v73, v6, v7                                  // 00000000CD94: 68920F06
	v_readlane_b32 s82, v3, 8                                  // 00000000CD98: D2890052 00011103
	s_lshr_b32 s61, s82, 24                                    // 00000000CDA0: 8F3D9852
	s_and_b32 s82, s82, 0xffffff                               // 00000000CDA4: 8652FF52 00FFFFFF
	s_mul_i32 s82, s82, s71                                    // 00000000CDAC: 92524752
	s_mul_i32 s61, s60, s61                                    // 00000000CDB0: 923D3D3C
	s_add_u32 s82, s82, s61                                    // 00000000CDB4: 80523D52
	v_mul_lo_u32 v6, v5, s82                                   // 00000000CDB8: D2850006 0000A505
	v_readlane_b32 s82, v3, 9                                  // 00000000CDC0: D2890052 00011303
	s_lshr_b32 s61, s82, 24                                    // 00000000CDC8: 8F3D9852
	s_and_b32 s82, s82, 0xffffff                               // 00000000CDCC: 8652FF52 00FFFFFF
	s_mul_i32 s82, s82, s71                                    // 00000000CDD4: 92524752
	s_mul_i32 s61, s60, s61                                    // 00000000CDD8: 923D3D3C
	s_add_u32 s82, s82, s61                                    // 00000000CDDC: 80523D52
	v_mul_lo_u32 v7, v4, s82                                   // 00000000CDE0: D2850007 0000A504
	v_add_u32_e32 v74, v6, v7                                  // 00000000CDE8: 68940F06
	v_readlane_b32 s82, v3, 10                                 // 00000000CDEC: D2890052 00011503
	s_lshr_b32 s61, s82, 24                                    // 00000000CDF4: 8F3D9852
	s_and_b32 s82, s82, 0xffffff                               // 00000000CDF8: 8652FF52 00FFFFFF
	s_mul_i32 s82, s82, s71                                    // 00000000CE00: 92524752
	s_mul_i32 s61, s60, s61                                    // 00000000CE04: 923D3D3C
	s_add_u32 s82, s82, s61                                    // 00000000CE08: 80523D52
	v_mul_lo_u32 v6, v5, s82                                   // 00000000CE0C: D2850006 0000A505
	v_readlane_b32 s82, v3, 11                                 // 00000000CE14: D2890052 00011703
	s_lshr_b32 s61, s82, 24                                    // 00000000CE1C: 8F3D9852
	s_and_b32 s82, s82, 0xffffff                               // 00000000CE20: 8652FF52 00FFFFFF
	s_mul_i32 s82, s82, s71                                    // 00000000CE28: 92524752
	s_mul_i32 s61, s60, s61                                    // 00000000CE2C: 923D3D3C
	s_add_u32 s82, s82, s61                                    // 00000000CE30: 80523D52
	v_mul_lo_u32 v7, v4, s82                                   // 00000000CE34: D2850007 0000A504
	v_add_u32_e32 v75, v6, v7                                  // 00000000CE3C: 68960F06
	v_readlane_b32 s82, v3, 12                                 // 00000000CE40: D2890052 00011903
	s_lshr_b32 s61, s82, 24                                    // 00000000CE48: 8F3D9852
	s_and_b32 s82, s82, 0xffffff                               // 00000000CE4C: 8652FF52 00FFFFFF
	s_mul_i32 s82, s82, s71                                    // 00000000CE54: 92524752
	s_mul_i32 s61, s60, s61                                    // 00000000CE58: 923D3D3C
	s_add_u32 s82, s82, s61                                    // 00000000CE5C: 80523D52
	v_mul_lo_u32 v6, v5, s82                                   // 00000000CE60: D2850006 0000A505
	v_readlane_b32 s82, v3, 13                                 // 00000000CE68: D2890052 00011B03
	s_lshr_b32 s61, s82, 24                                    // 00000000CE70: 8F3D9852
	s_and_b32 s82, s82, 0xffffff                               // 00000000CE74: 8652FF52 00FFFFFF
	s_mul_i32 s82, s82, s71                                    // 00000000CE7C: 92524752
	s_mul_i32 s61, s60, s61                                    // 00000000CE80: 923D3D3C
	s_add_u32 s82, s82, s61                                    // 00000000CE84: 80523D52
	v_mul_lo_u32 v7, v4, s82                                   // 00000000CE88: D2850007 0000A504
	v_add_u32_e32 v76, v6, v7                                  // 00000000CE90: 68980F06
	v_readlane_b32 s82, v3, 14                                 // 00000000CE94: D2890052 00011D03
	s_lshr_b32 s61, s82, 24                                    // 00000000CE9C: 8F3D9852
	s_and_b32 s82, s82, 0xffffff                               // 00000000CEA0: 8652FF52 00FFFFFF
	s_mul_i32 s82, s82, s71                                    // 00000000CEA8: 92524752
	s_mul_i32 s61, s60, s61                                    // 00000000CEAC: 923D3D3C
	s_add_u32 s82, s82, s61                                    // 00000000CEB0: 80523D52
	v_mul_lo_u32 v6, v5, s82                                   // 00000000CEB4: D2850006 0000A505
	v_readlane_b32 s82, v3, 15                                 // 00000000CEBC: D2890052 00011F03
	s_lshr_b32 s61, s82, 24                                    // 00000000CEC4: 8F3D9852
	s_and_b32 s82, s82, 0xffffff                               // 00000000CEC8: 8652FF52 00FFFFFF
	s_mul_i32 s82, s82, s71                                    // 00000000CED0: 92524752
	s_mul_i32 s61, s60, s61                                    // 00000000CED4: 923D3D3C
	s_add_u32 s82, s82, s61                                    // 00000000CED8: 80523D52
	v_mul_lo_u32 v7, v4, s82                                   // 00000000CEDC: D2850007 0000A504
	v_add_u32_e32 v77, v6, v7                                  // 00000000CEE4: 689A0F06
	v_readlane_b32 s82, v3, 16                                 // 00000000CEE8: D2890052 00012103
	s_lshr_b32 s61, s82, 24                                    // 00000000CEF0: 8F3D9852
	s_and_b32 s82, s82, 0xffffff                               // 00000000CEF4: 8652FF52 00FFFFFF
	s_mul_i32 s82, s82, s71                                    // 00000000CEFC: 92524752
	s_mul_i32 s61, s60, s61                                    // 00000000CF00: 923D3D3C
	s_add_u32 s82, s82, s61                                    // 00000000CF04: 80523D52
	v_mul_lo_u32 v6, v5, s82                                   // 00000000CF08: D2850006 0000A505
	v_readlane_b32 s82, v3, 17                                 // 00000000CF10: D2890052 00012303
	s_lshr_b32 s61, s82, 24                                    // 00000000CF18: 8F3D9852
	s_and_b32 s82, s82, 0xffffff                               // 00000000CF1C: 8652FF52 00FFFFFF
	s_mul_i32 s82, s82, s71                                    // 00000000CF24: 92524752
	s_mul_i32 s61, s60, s61                                    // 00000000CF28: 923D3D3C
	s_add_u32 s82, s82, s61                                    // 00000000CF2C: 80523D52
	v_mul_lo_u32 v7, v4, s82                                   // 00000000CF30: D2850007 0000A504
	v_add_u32_e32 v78, v6, v7                                  // 00000000CF38: 689C0F06
	v_readlane_b32 s82, v3, 18                                 // 00000000CF3C: D2890052 00012503
	s_lshr_b32 s61, s82, 24                                    // 00000000CF44: 8F3D9852
	s_and_b32 s82, s82, 0xffffff                               // 00000000CF48: 8652FF52 00FFFFFF
	s_mul_i32 s82, s82, s71                                    // 00000000CF50: 92524752
	s_mul_i32 s61, s60, s61                                    // 00000000CF54: 923D3D3C
	s_add_u32 s82, s82, s61                                    // 00000000CF58: 80523D52
	v_mul_lo_u32 v6, v5, s82                                   // 00000000CF5C: D2850006 0000A505
	v_readlane_b32 s82, v3, 19                                 // 00000000CF64: D2890052 00012703
	s_lshr_b32 s61, s82, 24                                    // 00000000CF6C: 8F3D9852
	s_and_b32 s82, s82, 0xffffff                               // 00000000CF70: 8652FF52 00FFFFFF
	s_mul_i32 s82, s82, s71                                    // 00000000CF78: 92524752
	s_mul_i32 s61, s60, s61                                    // 00000000CF7C: 923D3D3C
	s_add_u32 s82, s82, s61                                    // 00000000CF80: 80523D52
	v_mul_lo_u32 v7, v4, s82                                   // 00000000CF84: D2850007 0000A504
	v_add_u32_e32 v79, v6, v7                                  // 00000000CF8C: 689E0F06
	v_readlane_b32 s82, v3, 20                                 // 00000000CF90: D2890052 00012903
	s_lshr_b32 s61, s82, 24                                    // 00000000CF98: 8F3D9852
	s_and_b32 s82, s82, 0xffffff                               // 00000000CF9C: 8652FF52 00FFFFFF
	s_mul_i32 s82, s82, s71                                    // 00000000CFA4: 92524752
	s_mul_i32 s61, s60, s61                                    // 00000000CFA8: 923D3D3C
	s_add_u32 s82, s82, s61                                    // 00000000CFAC: 80523D52
	v_mul_lo_u32 v6, v5, s82                                   // 00000000CFB0: D2850006 0000A505
	v_readlane_b32 s82, v3, 21                                 // 00000000CFB8: D2890052 00012B03
	s_lshr_b32 s61, s82, 24                                    // 00000000CFC0: 8F3D9852
	s_and_b32 s82, s82, 0xffffff                               // 00000000CFC4: 8652FF52 00FFFFFF
	s_mul_i32 s82, s82, s71                                    // 00000000CFCC: 92524752
	s_mul_i32 s61, s60, s61                                    // 00000000CFD0: 923D3D3C
	s_add_u32 s82, s82, s61                                    // 00000000CFD4: 80523D52
	v_mul_lo_u32 v7, v4, s82                                   // 00000000CFD8: D2850007 0000A504
	v_add_u32_e32 v80, v6, v7                                  // 00000000CFE0: 68A00F06
	v_readlane_b32 s82, v3, 22                                 // 00000000CFE4: D2890052 00012D03
	s_lshr_b32 s61, s82, 24                                    // 00000000CFEC: 8F3D9852
	s_and_b32 s82, s82, 0xffffff                               // 00000000CFF0: 8652FF52 00FFFFFF
	s_mul_i32 s82, s82, s71                                    // 00000000CFF8: 92524752
	s_mul_i32 s61, s60, s61                                    // 00000000CFFC: 923D3D3C
	s_add_u32 s82, s82, s61                                    // 00000000D000: 80523D52
	v_mul_lo_u32 v6, v5, s82                                   // 00000000D004: D2850006 0000A505
	v_readlane_b32 s82, v3, 23                                 // 00000000D00C: D2890052 00012F03
	s_lshr_b32 s61, s82, 24                                    // 00000000D014: 8F3D9852
	s_and_b32 s82, s82, 0xffffff                               // 00000000D018: 8652FF52 00FFFFFF
	s_mul_i32 s82, s82, s71                                    // 00000000D020: 92524752
	s_mul_i32 s61, s60, s61                                    // 00000000D024: 923D3D3C
	s_add_u32 s82, s82, s61                                    // 00000000D028: 80523D52
	v_mul_lo_u32 v7, v4, s82                                   // 00000000D02C: D2850007 0000A504
	v_add_u32_e32 v81, v6, v7                                  // 00000000D034: 68A20F06
	v_readlane_b32 s82, v3, 24                                 // 00000000D038: D2890052 00013103
	s_lshr_b32 s61, s82, 24                                    // 00000000D040: 8F3D9852
	s_and_b32 s82, s82, 0xffffff                               // 00000000D044: 8652FF52 00FFFFFF
	s_mul_i32 s82, s82, s71                                    // 00000000D04C: 92524752
	s_mul_i32 s61, s60, s61                                    // 00000000D050: 923D3D3C
	s_add_u32 s82, s82, s61                                    // 00000000D054: 80523D52
	v_mul_lo_u32 v6, v5, s82                                   // 00000000D058: D2850006 0000A505
	v_readlane_b32 s82, v3, 25                                 // 00000000D060: D2890052 00013303
	s_lshr_b32 s61, s82, 24                                    // 00000000D068: 8F3D9852
	s_and_b32 s82, s82, 0xffffff                               // 00000000D06C: 8652FF52 00FFFFFF
	s_mul_i32 s82, s82, s71                                    // 00000000D074: 92524752
	s_mul_i32 s61, s60, s61                                    // 00000000D078: 923D3D3C
	s_add_u32 s82, s82, s61                                    // 00000000D07C: 80523D52
	v_mul_lo_u32 v7, v4, s82                                   // 00000000D080: D2850007 0000A504
	v_add_u32_e32 v82, v6, v7                                  // 00000000D088: 68A40F06
	v_readlane_b32 s82, v3, 26                                 // 00000000D08C: D2890052 00013503
	s_lshr_b32 s61, s82, 24                                    // 00000000D094: 8F3D9852
	s_and_b32 s82, s82, 0xffffff                               // 00000000D098: 8652FF52 00FFFFFF
	s_mul_i32 s82, s82, s71                                    // 00000000D0A0: 92524752
	s_mul_i32 s61, s60, s61                                    // 00000000D0A4: 923D3D3C
	s_add_u32 s82, s82, s61                                    // 00000000D0A8: 80523D52
	v_mul_lo_u32 v6, v5, s82                                   // 00000000D0AC: D2850006 0000A505
	v_readlane_b32 s82, v3, 27                                 // 00000000D0B4: D2890052 00013703
	s_lshr_b32 s61, s82, 24                                    // 00000000D0BC: 8F3D9852
	s_and_b32 s82, s82, 0xffffff                               // 00000000D0C0: 8652FF52 00FFFFFF
	s_mul_i32 s82, s82, s71                                    // 00000000D0C8: 92524752
	s_mul_i32 s61, s60, s61                                    // 00000000D0CC: 923D3D3C
	s_add_u32 s82, s82, s61                                    // 00000000D0D0: 80523D52
	v_mul_lo_u32 v7, v4, s82                                   // 00000000D0D4: D2850007 0000A504
	v_add_u32_e32 v83, v6, v7                                  // 00000000D0DC: 68A60F06
	v_readlane_b32 s82, v3, 28                                 // 00000000D0E0: D2890052 00013903
	s_lshr_b32 s61, s82, 24                                    // 00000000D0E8: 8F3D9852
	s_and_b32 s82, s82, 0xffffff                               // 00000000D0EC: 8652FF52 00FFFFFF
	s_mul_i32 s82, s82, s71                                    // 00000000D0F4: 92524752
	s_mul_i32 s61, s60, s61                                    // 00000000D0F8: 923D3D3C
	s_add_u32 s82, s82, s61                                    // 00000000D0FC: 80523D52
	v_mul_lo_u32 v6, v5, s82                                   // 00000000D100: D2850006 0000A505
	v_readlane_b32 s82, v3, 29                                 // 00000000D108: D2890052 00013B03
	s_lshr_b32 s61, s82, 24                                    // 00000000D110: 8F3D9852
	s_and_b32 s82, s82, 0xffffff                               // 00000000D114: 8652FF52 00FFFFFF
	s_mul_i32 s82, s82, s71                                    // 00000000D11C: 92524752
	s_mul_i32 s61, s60, s61                                    // 00000000D120: 923D3D3C
	s_add_u32 s82, s82, s61                                    // 00000000D124: 80523D52
	v_mul_lo_u32 v7, v4, s82                                   // 00000000D128: D2850007 0000A504
	v_add_u32_e32 v84, v6, v7                                  // 00000000D130: 68A80F06
	v_readlane_b32 s82, v3, 30                                 // 00000000D134: D2890052 00013D03
	s_lshr_b32 s61, s82, 24                                    // 00000000D13C: 8F3D9852
	s_and_b32 s82, s82, 0xffffff                               // 00000000D140: 8652FF52 00FFFFFF
	s_mul_i32 s82, s82, s71                                    // 00000000D148: 92524752
	s_mul_i32 s61, s60, s61                                    // 00000000D14C: 923D3D3C
	s_add_u32 s82, s82, s61                                    // 00000000D150: 80523D52
	v_mul_lo_u32 v6, v5, s82                                   // 00000000D154: D2850006 0000A505
	v_readlane_b32 s82, v3, 31                                 // 00000000D15C: D2890052 00013F03
	s_lshr_b32 s61, s82, 24                                    // 00000000D164: 8F3D9852
	s_and_b32 s82, s82, 0xffffff                               // 00000000D168: 8652FF52 00FFFFFF
	s_mul_i32 s82, s82, s71                                    // 00000000D170: 92524752
	s_mul_i32 s61, s60, s61                                    // 00000000D174: 923D3D3C
	s_add_u32 s82, s82, s61                                    // 00000000D178: 80523D52
	v_mul_lo_u32 v7, v4, s82                                   // 00000000D17C: D2850007 0000A504
	v_add_u32_e32 v85, v6, v7                                  // 00000000D184: 68AA0F06
	v_readlane_b32 s82, v3, 32                                 // 00000000D188: D2890052 00014103
	s_lshr_b32 s61, s82, 24                                    // 00000000D190: 8F3D9852
	s_and_b32 s82, s82, 0xffffff                               // 00000000D194: 8652FF52 00FFFFFF
	s_mul_i32 s82, s82, s71                                    // 00000000D19C: 92524752
	s_mul_i32 s61, s60, s61                                    // 00000000D1A0: 923D3D3C
	s_add_u32 s82, s82, s61                                    // 00000000D1A4: 80523D52
	v_mul_lo_u32 v6, v5, s82                                   // 00000000D1A8: D2850006 0000A505
	v_readlane_b32 s82, v3, 33                                 // 00000000D1B0: D2890052 00014303
	s_lshr_b32 s61, s82, 24                                    // 00000000D1B8: 8F3D9852
	s_and_b32 s82, s82, 0xffffff                               // 00000000D1BC: 8652FF52 00FFFFFF
	s_mul_i32 s82, s82, s71                                    // 00000000D1C4: 92524752
	s_mul_i32 s61, s60, s61                                    // 00000000D1C8: 923D3D3C
	s_add_u32 s82, s82, s61                                    // 00000000D1CC: 80523D52
	v_mul_lo_u32 v7, v4, s82                                   // 00000000D1D0: D2850007 0000A504
	v_add_u32_e32 v86, v6, v7                                  // 00000000D1D8: 68AC0F06
	v_readlane_b32 s82, v3, 34                                 // 00000000D1DC: D2890052 00014503
	s_lshr_b32 s61, s82, 24                                    // 00000000D1E4: 8F3D9852
	s_and_b32 s82, s82, 0xffffff                               // 00000000D1E8: 8652FF52 00FFFFFF
	s_mul_i32 s82, s82, s71                                    // 00000000D1F0: 92524752
	s_mul_i32 s61, s60, s61                                    // 00000000D1F4: 923D3D3C
	s_add_u32 s82, s82, s61                                    // 00000000D1F8: 80523D52
	v_mul_lo_u32 v6, v5, s82                                   // 00000000D1FC: D2850006 0000A505
	v_readlane_b32 s82, v3, 35                                 // 00000000D204: D2890052 00014703
	s_lshr_b32 s61, s82, 24                                    // 00000000D20C: 8F3D9852
	s_and_b32 s82, s82, 0xffffff                               // 00000000D210: 8652FF52 00FFFFFF
	s_mul_i32 s82, s82, s71                                    // 00000000D218: 92524752
	s_mul_i32 s61, s60, s61                                    // 00000000D21C: 923D3D3C
	s_add_u32 s82, s82, s61                                    // 00000000D220: 80523D52
	v_mul_lo_u32 v7, v4, s82                                   // 00000000D224: D2850007 0000A504
	v_add_u32_e32 v87, v6, v7                                  // 00000000D22C: 68AE0F06
	v_readlane_b32 s82, v3, 36                                 // 00000000D230: D2890052 00014903
	s_lshr_b32 s61, s82, 24                                    // 00000000D238: 8F3D9852
	s_and_b32 s82, s82, 0xffffff                               // 00000000D23C: 8652FF52 00FFFFFF
	s_mul_i32 s82, s82, s71                                    // 00000000D244: 92524752
	s_mul_i32 s61, s60, s61                                    // 00000000D248: 923D3D3C
	s_add_u32 s82, s82, s61                                    // 00000000D24C: 80523D52
	v_mul_lo_u32 v6, v5, s82                                   // 00000000D250: D2850006 0000A505
	v_readlane_b32 s82, v3, 37                                 // 00000000D258: D2890052 00014B03
	s_lshr_b32 s61, s82, 24                                    // 00000000D260: 8F3D9852
	s_and_b32 s82, s82, 0xffffff                               // 00000000D264: 8652FF52 00FFFFFF
	s_mul_i32 s82, s82, s71                                    // 00000000D26C: 92524752
	s_mul_i32 s61, s60, s61                                    // 00000000D270: 923D3D3C
	s_add_u32 s82, s82, s61                                    // 00000000D274: 80523D52
	v_mul_lo_u32 v7, v4, s82                                   // 00000000D278: D2850007 0000A504
	v_add_u32_e32 v88, v6, v7                                  // 00000000D280: 68B00F06
	v_readlane_b32 s82, v3, 38                                 // 00000000D284: D2890052 00014D03
	s_lshr_b32 s61, s82, 24                                    // 00000000D28C: 8F3D9852
	s_and_b32 s82, s82, 0xffffff                               // 00000000D290: 8652FF52 00FFFFFF
	s_mul_i32 s82, s82, s71                                    // 00000000D298: 92524752
	s_mul_i32 s61, s60, s61                                    // 00000000D29C: 923D3D3C
	s_add_u32 s82, s82, s61                                    // 00000000D2A0: 80523D52
	v_mul_lo_u32 v6, v5, s82                                   // 00000000D2A4: D2850006 0000A505
	v_readlane_b32 s82, v3, 39                                 // 00000000D2AC: D2890052 00014F03
	s_lshr_b32 s61, s82, 24                                    // 00000000D2B4: 8F3D9852
	s_and_b32 s82, s82, 0xffffff                               // 00000000D2B8: 8652FF52 00FFFFFF
	s_mul_i32 s82, s82, s71                                    // 00000000D2C0: 92524752
	s_mul_i32 s61, s60, s61                                    // 00000000D2C4: 923D3D3C
	s_add_u32 s82, s82, s61                                    // 00000000D2C8: 80523D52
	v_mul_lo_u32 v7, v4, s82                                   // 00000000D2CC: D2850007 0000A504
	v_add_u32_e32 v89, v6, v7                                  // 00000000D2D4: 68B20F06
	v_and_b32_e32 v4, 31, v0                                   // 00000000D2D8: 2608009F
	v_lshrrev_b32_e32 v4, 1, v4                                // 00000000D2DC: 20080881
	s_cmp_eq_u32 s88, 0                                        // 00000000D2E0: BF068058
	s_cselect_b32 s61, 2, 4                                    // 00000000D2E4: 853D8482
	v_mul_lo_u32 v4, v4, s61                                   // 00000000D2E8: D2850004 00007B04
	v_and_b32_e64 v5, v0, 1                                    // 00000000D2F0: D1130005 00010300
	v_add_u32_e32 v4, v4, v5                                   // 00000000D2F8: 68080B04
	v_lshlrev_b32_e32 v4, 2, v4                                // 00000000D2FC: 24080882
	v_add_u32_e32 v70, v70, v4                                 // 00000000D300: 688C0946
	v_add_u32_e32 v71, v71, v4                                 // 00000000D304: 688E0947
	v_add_u32_e32 v72, v72, v4                                 // 00000000D308: 68900948
	v_add_u32_e32 v73, v73, v4                                 // 00000000D30C: 68920949
	v_add_u32_e32 v74, v74, v4                                 // 00000000D310: 6894094A
	v_add_u32_e32 v75, v75, v4                                 // 00000000D314: 6896094B
	v_add_u32_e32 v76, v76, v4                                 // 00000000D318: 6898094C
	v_add_u32_e32 v77, v77, v4                                 // 00000000D31C: 689A094D
	v_add_u32_e32 v78, v78, v4                                 // 00000000D320: 689C094E
	v_add_u32_e32 v79, v79, v4                                 // 00000000D324: 689E094F
	v_add_u32_e32 v80, v80, v4                                 // 00000000D328: 68A00950
	v_add_u32_e32 v81, v81, v4                                 // 00000000D32C: 68A20951
	v_add_u32_e32 v82, v82, v4                                 // 00000000D330: 68A40952
	v_add_u32_e32 v83, v83, v4                                 // 00000000D334: 68A60953
	v_add_u32_e32 v84, v84, v4                                 // 00000000D338: 68A80954
	v_add_u32_e32 v85, v85, v4                                 // 00000000D33C: 68AA0955
	v_add_u32_e32 v86, v86, v4                                 // 00000000D340: 68AC0956
	v_add_u32_e32 v87, v87, v4                                 // 00000000D344: 68AE0957
	v_add_u32_e32 v88, v88, v4                                 // 00000000D348: 68B00958
	v_add_u32_e32 v89, v89, v4                                 // 00000000D34C: 68B20959
	s_waitcnt lgkmcnt(0)                                       // 00000000D350: BF8CC07F
	s_barrier                                                  // 00000000D354: BF8A0000
	ds_read_b32 v92, v21                                       // 00000000D358: D86C0000 5C000015
	ds_read_b32 v93, v21 offset:64                             // 00000000D360: D86C0040 5D000015
	ds_read_b32 v94, v21 offset:2176                           // 00000000D368: D86C0880 5E000015
	ds_read_b32 v95, v21 offset:2240                           // 00000000D370: D86C08C0 5F000015
	ds_read_b32 v96, v21 offset:4352                           // 00000000D378: D86C1100 60000015
	ds_read_b32 v97, v21 offset:4416                           // 00000000D380: D86C1140 61000015
	ds_read_b32 v98, v21 offset:6528                           // 00000000D388: D86C1980 62000015
	ds_read_b32 v99, v21 offset:6592                           // 00000000D390: D86C19C0 63000015
	ds_read_b32 v100, v21 offset:8704                          // 00000000D398: D86C2200 64000015
	ds_read_b32 v101, v21 offset:8768                          // 00000000D3A0: D86C2240 65000015
	ds_read_b32 v102, v21 offset:10880                         // 00000000D3A8: D86C2A80 66000015
	ds_read_b32 v103, v21 offset:10944                         // 00000000D3B0: D86C2AC0 67000015
	ds_read_b32 v104, v21 offset:13056                         // 00000000D3B8: D86C3300 68000015
	ds_read_b32 v105, v21 offset:13120                         // 00000000D3C0: D86C3340 69000015
	ds_read_b32 v106, v21 offset:15232                         // 00000000D3C8: D86C3B80 6A000015
	ds_read_b32 v107, v21 offset:15296                         // 00000000D3D0: D86C3BC0 6B000015
	ds_read_b32 v108, v21 offset:17408                         // 00000000D3D8: D86C4400 6C000015
	ds_read_b32 v109, v21 offset:17472                         // 00000000D3E0: D86C4440 6D000015
	ds_read_b32 v110, v21 offset:19584                         // 00000000D3E8: D86C4C80 6E000015
	ds_read_b32 v111, v21 offset:19648                         // 00000000D3F0: D86C4CC0 6F000015
	s_waitcnt lgkmcnt(0)                                       // 00000000D3F8: BF8CC07F
	s_mov_b32 s36, -1                                          // 00000000D3FC: BEA400C1
	s_mov_b32 s37, -1                                          // 00000000D400: BEA500C1
	v_mov_b32_e32 v7, 0                                        // 00000000D404: 7E0E0280
	s_or_b32 s9, s9, 0x40000                                   // 00000000D408: 8709FF09 00040000
	s_mov_b64 exec, s[36:37]                                   // 00000000D410: BEFE0124
	v_mov_b32_e32 v6, v70                                      // 00000000D414: 7E0C0346
	s_mov_b64 s[60:61], 0                                      // 00000000D418: BEBC0180
	v_readlane_b32 s82, v3, 0                                  // 00000000D41C: D2890052 00010103
	s_and_b32 s82, s82, 0xffffff                               // 00000000D424: 8652FF52 00FFFFFF
	s_cmp_lt_u32 s82, s66                                      // 00000000D42C: BF0A4252
	s_cselect_b32 s20, s36, s60                                // 00000000D430: 85143C24
	v_readlane_b32 s82, v3, 1                                  // 00000000D434: D2890052 00010303
	s_and_b32 s82, s82, 0xffffff                               // 00000000D43C: 8652FF52 00FFFFFF
	s_cmp_lt_u32 s82, s66                                      // 00000000D444: BF0A4252
	s_cselect_b32 s21, s36, s60                                // 00000000D448: 85153C24
	s_mov_b64 exec, s[20:21]                                   // 00000000D44C: BEFE0114
	buffer_store_dword v92, v6, s[8:11], 0 offen               // 00000000D450: E0701000 80025C06
	s_mov_b64 exec, s[36:37]                                   // 00000000D458: BEFE0124
	v_mov_b32_e32 v6, v71                                      // 00000000D45C: 7E0C0347
	s_mov_b64 s[60:61], 0                                      // 00000000D460: BEBC0180
	v_readlane_b32 s82, v3, 2                                  // 00000000D464: D2890052 00010503
	s_and_b32 s82, s82, 0xffffff                               // 00000000D46C: 8652FF52 00FFFFFF
	s_cmp_lt_u32 s82, s66                                      // 00000000D474: BF0A4252
	s_cselect_b32 s20, s36, s60                                // 00000000D478: 85143C24
	v_readlane_b32 s82, v3, 3                                  // 00000000D47C: D2890052 00010703
	s_and_b32 s82, s82, 0xffffff                               // 00000000D484: 8652FF52 00FFFFFF
	s_cmp_lt_u32 s82, s66                                      // 00000000D48C: BF0A4252
	s_cselect_b32 s21, s36, s60                                // 00000000D490: 85153C24
	s_mov_b64 exec, s[20:21]                                   // 00000000D494: BEFE0114
	buffer_store_dword v93, v6, s[8:11], 0 offen               // 00000000D498: E0701000 80025D06
	s_mov_b64 exec, s[36:37]                                   // 00000000D4A0: BEFE0124
	v_mov_b32_e32 v6, v72                                      // 00000000D4A4: 7E0C0348
	s_mov_b64 s[60:61], 0                                      // 00000000D4A8: BEBC0180
	v_readlane_b32 s82, v3, 4                                  // 00000000D4AC: D2890052 00010903
	s_and_b32 s82, s82, 0xffffff                               // 00000000D4B4: 8652FF52 00FFFFFF
	s_cmp_lt_u32 s82, s66                                      // 00000000D4BC: BF0A4252
	s_cselect_b32 s20, s36, s60                                // 00000000D4C0: 85143C24
	v_readlane_b32 s82, v3, 5                                  // 00000000D4C4: D2890052 00010B03
	s_and_b32 s82, s82, 0xffffff                               // 00000000D4CC: 8652FF52 00FFFFFF
	s_cmp_lt_u32 s82, s66                                      // 00000000D4D4: BF0A4252
	s_cselect_b32 s21, s36, s60                                // 00000000D4D8: 85153C24
	s_mov_b64 exec, s[20:21]                                   // 00000000D4DC: BEFE0114
	buffer_store_dword v94, v6, s[8:11], 0 offen               // 00000000D4E0: E0701000 80025E06
	s_mov_b64 exec, s[36:37]                                   // 00000000D4E8: BEFE0124
	v_mov_b32_e32 v6, v73                                      // 00000000D4EC: 7E0C0349
	s_mov_b64 s[60:61], 0                                      // 00000000D4F0: BEBC0180
	v_readlane_b32 s82, v3, 6                                  // 00000000D4F4: D2890052 00010D03
	s_and_b32 s82, s82, 0xffffff                               // 00000000D4FC: 8652FF52 00FFFFFF
	s_cmp_lt_u32 s82, s66                                      // 00000000D504: BF0A4252
	s_cselect_b32 s20, s36, s60                                // 00000000D508: 85143C24
	v_readlane_b32 s82, v3, 7                                  // 00000000D50C: D2890052 00010F03
	s_and_b32 s82, s82, 0xffffff                               // 00000000D514: 8652FF52 00FFFFFF
	s_cmp_lt_u32 s82, s66                                      // 00000000D51C: BF0A4252
	s_cselect_b32 s21, s36, s60                                // 00000000D520: 85153C24
	s_mov_b64 exec, s[20:21]                                   // 00000000D524: BEFE0114
	buffer_store_dword v95, v6, s[8:11], 0 offen               // 00000000D528: E0701000 80025F06
	s_mov_b64 exec, s[36:37]                                   // 00000000D530: BEFE0124
	v_mov_b32_e32 v6, v74                                      // 00000000D534: 7E0C034A
	s_mov_b64 s[60:61], 0                                      // 00000000D538: BEBC0180
	v_readlane_b32 s82, v3, 8                                  // 00000000D53C: D2890052 00011103
	s_and_b32 s82, s82, 0xffffff                               // 00000000D544: 8652FF52 00FFFFFF
	s_cmp_lt_u32 s82, s66                                      // 00000000D54C: BF0A4252
	s_cselect_b32 s20, s36, s60                                // 00000000D550: 85143C24
	v_readlane_b32 s82, v3, 9                                  // 00000000D554: D2890052 00011303
	s_and_b32 s82, s82, 0xffffff                               // 00000000D55C: 8652FF52 00FFFFFF
	s_cmp_lt_u32 s82, s66                                      // 00000000D564: BF0A4252
	s_cselect_b32 s21, s36, s60                                // 00000000D568: 85153C24
	s_mov_b64 exec, s[20:21]                                   // 00000000D56C: BEFE0114
	buffer_store_dword v96, v6, s[8:11], 0 offen               // 00000000D570: E0701000 80026006
	s_mov_b64 exec, s[36:37]                                   // 00000000D578: BEFE0124
	v_mov_b32_e32 v6, v75                                      // 00000000D57C: 7E0C034B
	s_mov_b64 s[60:61], 0                                      // 00000000D580: BEBC0180
	v_readlane_b32 s82, v3, 10                                 // 00000000D584: D2890052 00011503
	s_and_b32 s82, s82, 0xffffff                               // 00000000D58C: 8652FF52 00FFFFFF
	s_cmp_lt_u32 s82, s66                                      // 00000000D594: BF0A4252
	s_cselect_b32 s20, s36, s60                                // 00000000D598: 85143C24
	v_readlane_b32 s82, v3, 11                                 // 00000000D59C: D2890052 00011703
	s_and_b32 s82, s82, 0xffffff                               // 00000000D5A4: 8652FF52 00FFFFFF
	s_cmp_lt_u32 s82, s66                                      // 00000000D5AC: BF0A4252
	s_cselect_b32 s21, s36, s60                                // 00000000D5B0: 85153C24
	s_mov_b64 exec, s[20:21]                                   // 00000000D5B4: BEFE0114
	buffer_store_dword v97, v6, s[8:11], 0 offen               // 00000000D5B8: E0701000 80026106
	s_mov_b64 exec, s[36:37]                                   // 00000000D5C0: BEFE0124
	v_mov_b32_e32 v6, v76                                      // 00000000D5C4: 7E0C034C
	s_mov_b64 s[60:61], 0                                      // 00000000D5C8: BEBC0180
	v_readlane_b32 s82, v3, 12                                 // 00000000D5CC: D2890052 00011903
	s_and_b32 s82, s82, 0xffffff                               // 00000000D5D4: 8652FF52 00FFFFFF
	s_cmp_lt_u32 s82, s66                                      // 00000000D5DC: BF0A4252
	s_cselect_b32 s20, s36, s60                                // 00000000D5E0: 85143C24
	v_readlane_b32 s82, v3, 13                                 // 00000000D5E4: D2890052 00011B03
	s_and_b32 s82, s82, 0xffffff                               // 00000000D5EC: 8652FF52 00FFFFFF
	s_cmp_lt_u32 s82, s66                                      // 00000000D5F4: BF0A4252
	s_cselect_b32 s21, s36, s60                                // 00000000D5F8: 85153C24
	s_mov_b64 exec, s[20:21]                                   // 00000000D5FC: BEFE0114
	buffer_store_dword v98, v6, s[8:11], 0 offen               // 00000000D600: E0701000 80026206
	s_mov_b64 exec, s[36:37]                                   // 00000000D608: BEFE0124
	v_mov_b32_e32 v6, v77                                      // 00000000D60C: 7E0C034D
	s_mov_b64 s[60:61], 0                                      // 00000000D610: BEBC0180
	v_readlane_b32 s82, v3, 14                                 // 00000000D614: D2890052 00011D03
	s_and_b32 s82, s82, 0xffffff                               // 00000000D61C: 8652FF52 00FFFFFF
	s_cmp_lt_u32 s82, s66                                      // 00000000D624: BF0A4252
	s_cselect_b32 s20, s36, s60                                // 00000000D628: 85143C24
	v_readlane_b32 s82, v3, 15                                 // 00000000D62C: D2890052 00011F03
	s_and_b32 s82, s82, 0xffffff                               // 00000000D634: 8652FF52 00FFFFFF
	s_cmp_lt_u32 s82, s66                                      // 00000000D63C: BF0A4252
	s_cselect_b32 s21, s36, s60                                // 00000000D640: 85153C24
	s_mov_b64 exec, s[20:21]                                   // 00000000D644: BEFE0114
	buffer_store_dword v99, v6, s[8:11], 0 offen               // 00000000D648: E0701000 80026306
	s_mov_b64 exec, s[36:37]                                   // 00000000D650: BEFE0124
	v_mov_b32_e32 v6, v78                                      // 00000000D654: 7E0C034E
	s_mov_b64 s[60:61], 0                                      // 00000000D658: BEBC0180
	v_readlane_b32 s82, v3, 16                                 // 00000000D65C: D2890052 00012103
	s_and_b32 s82, s82, 0xffffff                               // 00000000D664: 8652FF52 00FFFFFF
	s_cmp_lt_u32 s82, s66                                      // 00000000D66C: BF0A4252
	s_cselect_b32 s20, s36, s60                                // 00000000D670: 85143C24
	v_readlane_b32 s82, v3, 17                                 // 00000000D674: D2890052 00012303
	s_and_b32 s82, s82, 0xffffff                               // 00000000D67C: 8652FF52 00FFFFFF
	s_cmp_lt_u32 s82, s66                                      // 00000000D684: BF0A4252
	s_cselect_b32 s21, s36, s60                                // 00000000D688: 85153C24
	s_mov_b64 exec, s[20:21]                                   // 00000000D68C: BEFE0114
	buffer_store_dword v100, v6, s[8:11], 0 offen              // 00000000D690: E0701000 80026406
	s_mov_b64 exec, s[36:37]                                   // 00000000D698: BEFE0124
	v_mov_b32_e32 v6, v79                                      // 00000000D69C: 7E0C034F
	s_mov_b64 s[60:61], 0                                      // 00000000D6A0: BEBC0180
	v_readlane_b32 s82, v3, 18                                 // 00000000D6A4: D2890052 00012503
	s_and_b32 s82, s82, 0xffffff                               // 00000000D6AC: 8652FF52 00FFFFFF
	s_cmp_lt_u32 s82, s66                                      // 00000000D6B4: BF0A4252
	s_cselect_b32 s20, s36, s60                                // 00000000D6B8: 85143C24
	v_readlane_b32 s82, v3, 19                                 // 00000000D6BC: D2890052 00012703
	s_and_b32 s82, s82, 0xffffff                               // 00000000D6C4: 8652FF52 00FFFFFF
	s_cmp_lt_u32 s82, s66                                      // 00000000D6CC: BF0A4252
	s_cselect_b32 s21, s36, s60                                // 00000000D6D0: 85153C24
	s_mov_b64 exec, s[20:21]                                   // 00000000D6D4: BEFE0114
	buffer_store_dword v101, v6, s[8:11], 0 offen              // 00000000D6D8: E0701000 80026506
	s_mov_b64 exec, s[36:37]                                   // 00000000D6E0: BEFE0124
	v_mov_b32_e32 v6, v80                                      // 00000000D6E4: 7E0C0350
	s_mov_b64 s[60:61], 0                                      // 00000000D6E8: BEBC0180
	v_readlane_b32 s82, v3, 20                                 // 00000000D6EC: D2890052 00012903
	s_and_b32 s82, s82, 0xffffff                               // 00000000D6F4: 8652FF52 00FFFFFF
	s_cmp_lt_u32 s82, s66                                      // 00000000D6FC: BF0A4252
	s_cselect_b32 s20, s36, s60                                // 00000000D700: 85143C24
	v_readlane_b32 s82, v3, 21                                 // 00000000D704: D2890052 00012B03
	s_and_b32 s82, s82, 0xffffff                               // 00000000D70C: 8652FF52 00FFFFFF
	s_cmp_lt_u32 s82, s66                                      // 00000000D714: BF0A4252
	s_cselect_b32 s21, s36, s60                                // 00000000D718: 85153C24
	s_mov_b64 exec, s[20:21]                                   // 00000000D71C: BEFE0114
	buffer_store_dword v102, v6, s[8:11], 0 offen              // 00000000D720: E0701000 80026606
	s_mov_b64 exec, s[36:37]                                   // 00000000D728: BEFE0124
	v_mov_b32_e32 v6, v81                                      // 00000000D72C: 7E0C0351
	s_mov_b64 s[60:61], 0                                      // 00000000D730: BEBC0180
	v_readlane_b32 s82, v3, 22                                 // 00000000D734: D2890052 00012D03
	s_and_b32 s82, s82, 0xffffff                               // 00000000D73C: 8652FF52 00FFFFFF
	s_cmp_lt_u32 s82, s66                                      // 00000000D744: BF0A4252
	s_cselect_b32 s20, s36, s60                                // 00000000D748: 85143C24
	v_readlane_b32 s82, v3, 23                                 // 00000000D74C: D2890052 00012F03
	s_and_b32 s82, s82, 0xffffff                               // 00000000D754: 8652FF52 00FFFFFF
	s_cmp_lt_u32 s82, s66                                      // 00000000D75C: BF0A4252
	s_cselect_b32 s21, s36, s60                                // 00000000D760: 85153C24
	s_mov_b64 exec, s[20:21]                                   // 00000000D764: BEFE0114
	buffer_store_dword v103, v6, s[8:11], 0 offen              // 00000000D768: E0701000 80026706
	s_mov_b64 exec, s[36:37]                                   // 00000000D770: BEFE0124
	v_mov_b32_e32 v6, v82                                      // 00000000D774: 7E0C0352
	s_mov_b64 s[60:61], 0                                      // 00000000D778: BEBC0180
	v_readlane_b32 s82, v3, 24                                 // 00000000D77C: D2890052 00013103
	s_and_b32 s82, s82, 0xffffff                               // 00000000D784: 8652FF52 00FFFFFF
	s_cmp_lt_u32 s82, s66                                      // 00000000D78C: BF0A4252
	s_cselect_b32 s20, s36, s60                                // 00000000D790: 85143C24
	v_readlane_b32 s82, v3, 25                                 // 00000000D794: D2890052 00013303
	s_and_b32 s82, s82, 0xffffff                               // 00000000D79C: 8652FF52 00FFFFFF
	s_cmp_lt_u32 s82, s66                                      // 00000000D7A4: BF0A4252
	s_cselect_b32 s21, s36, s60                                // 00000000D7A8: 85153C24
	s_mov_b64 exec, s[20:21]                                   // 00000000D7AC: BEFE0114
	buffer_store_dword v104, v6, s[8:11], 0 offen              // 00000000D7B0: E0701000 80026806
	s_mov_b64 exec, s[36:37]                                   // 00000000D7B8: BEFE0124
	v_mov_b32_e32 v6, v83                                      // 00000000D7BC: 7E0C0353
	s_mov_b64 s[60:61], 0                                      // 00000000D7C0: BEBC0180
	v_readlane_b32 s82, v3, 26                                 // 00000000D7C4: D2890052 00013503
	s_and_b32 s82, s82, 0xffffff                               // 00000000D7CC: 8652FF52 00FFFFFF
	s_cmp_lt_u32 s82, s66                                      // 00000000D7D4: BF0A4252
	s_cselect_b32 s20, s36, s60                                // 00000000D7D8: 85143C24
	v_readlane_b32 s82, v3, 27                                 // 00000000D7DC: D2890052 00013703
	s_and_b32 s82, s82, 0xffffff                               // 00000000D7E4: 8652FF52 00FFFFFF
	s_cmp_lt_u32 s82, s66                                      // 00000000D7EC: BF0A4252
	s_cselect_b32 s21, s36, s60                                // 00000000D7F0: 85153C24
	s_mov_b64 exec, s[20:21]                                   // 00000000D7F4: BEFE0114
	buffer_store_dword v105, v6, s[8:11], 0 offen              // 00000000D7F8: E0701000 80026906
	s_mov_b64 exec, s[36:37]                                   // 00000000D800: BEFE0124
	v_mov_b32_e32 v6, v84                                      // 00000000D804: 7E0C0354
	s_mov_b64 s[60:61], 0                                      // 00000000D808: BEBC0180
	v_readlane_b32 s82, v3, 28                                 // 00000000D80C: D2890052 00013903
	s_and_b32 s82, s82, 0xffffff                               // 00000000D814: 8652FF52 00FFFFFF
	s_cmp_lt_u32 s82, s66                                      // 00000000D81C: BF0A4252
	s_cselect_b32 s20, s36, s60                                // 00000000D820: 85143C24
	v_readlane_b32 s82, v3, 29                                 // 00000000D824: D2890052 00013B03
	s_and_b32 s82, s82, 0xffffff                               // 00000000D82C: 8652FF52 00FFFFFF
	s_cmp_lt_u32 s82, s66                                      // 00000000D834: BF0A4252
	s_cselect_b32 s21, s36, s60                                // 00000000D838: 85153C24
	s_mov_b64 exec, s[20:21]                                   // 00000000D83C: BEFE0114
	buffer_store_dword v106, v6, s[8:11], 0 offen              // 00000000D840: E0701000 80026A06
	s_mov_b64 exec, s[36:37]                                   // 00000000D848: BEFE0124
	v_mov_b32_e32 v6, v85                                      // 00000000D84C: 7E0C0355
	s_mov_b64 s[60:61], 0                                      // 00000000D850: BEBC0180
	v_readlane_b32 s82, v3, 30                                 // 00000000D854: D2890052 00013D03
	s_and_b32 s82, s82, 0xffffff                               // 00000000D85C: 8652FF52 00FFFFFF
	s_cmp_lt_u32 s82, s66                                      // 00000000D864: BF0A4252
	s_cselect_b32 s20, s36, s60                                // 00000000D868: 85143C24
	v_readlane_b32 s82, v3, 31                                 // 00000000D86C: D2890052 00013F03
	s_and_b32 s82, s82, 0xffffff                               // 00000000D874: 8652FF52 00FFFFFF
	s_cmp_lt_u32 s82, s66                                      // 00000000D87C: BF0A4252
	s_cselect_b32 s21, s36, s60                                // 00000000D880: 85153C24
	s_mov_b64 exec, s[20:21]                                   // 00000000D884: BEFE0114
	buffer_store_dword v107, v6, s[8:11], 0 offen              // 00000000D888: E0701000 80026B06
	s_mov_b64 exec, s[36:37]                                   // 00000000D890: BEFE0124
	v_mov_b32_e32 v6, v86                                      // 00000000D894: 7E0C0356
	s_mov_b64 s[60:61], 0                                      // 00000000D898: BEBC0180
	v_readlane_b32 s82, v3, 32                                 // 00000000D89C: D2890052 00014103
	s_and_b32 s82, s82, 0xffffff                               // 00000000D8A4: 8652FF52 00FFFFFF
	s_cmp_lt_u32 s82, s66                                      // 00000000D8AC: BF0A4252
	s_cselect_b32 s20, s36, s60                                // 00000000D8B0: 85143C24
	v_readlane_b32 s82, v3, 33                                 // 00000000D8B4: D2890052 00014303
	s_and_b32 s82, s82, 0xffffff                               // 00000000D8BC: 8652FF52 00FFFFFF
	s_cmp_lt_u32 s82, s66                                      // 00000000D8C4: BF0A4252
	s_cselect_b32 s21, s36, s60                                // 00000000D8C8: 85153C24
	s_mov_b64 exec, s[20:21]                                   // 00000000D8CC: BEFE0114
	buffer_store_dword v108, v6, s[8:11], 0 offen              // 00000000D8D0: E0701000 80026C06
	s_mov_b64 exec, s[36:37]                                   // 00000000D8D8: BEFE0124
	v_mov_b32_e32 v6, v87                                      // 00000000D8DC: 7E0C0357
	s_mov_b64 s[60:61], 0                                      // 00000000D8E0: BEBC0180
	v_readlane_b32 s82, v3, 34                                 // 00000000D8E4: D2890052 00014503
	s_and_b32 s82, s82, 0xffffff                               // 00000000D8EC: 8652FF52 00FFFFFF
	s_cmp_lt_u32 s82, s66                                      // 00000000D8F4: BF0A4252
	s_cselect_b32 s20, s36, s60                                // 00000000D8F8: 85143C24
	v_readlane_b32 s82, v3, 35                                 // 00000000D8FC: D2890052 00014703
	s_and_b32 s82, s82, 0xffffff                               // 00000000D904: 8652FF52 00FFFFFF
	s_cmp_lt_u32 s82, s66                                      // 00000000D90C: BF0A4252
	s_cselect_b32 s21, s36, s60                                // 00000000D910: 85153C24
	s_mov_b64 exec, s[20:21]                                   // 00000000D914: BEFE0114
	buffer_store_dword v109, v6, s[8:11], 0 offen              // 00000000D918: E0701000 80026D06
	s_mov_b64 exec, s[36:37]                                   // 00000000D920: BEFE0124
	v_mov_b32_e32 v6, v88                                      // 00000000D924: 7E0C0358
	s_mov_b64 s[60:61], 0                                      // 00000000D928: BEBC0180
	v_readlane_b32 s82, v3, 36                                 // 00000000D92C: D2890052 00014903
	s_and_b32 s82, s82, 0xffffff                               // 00000000D934: 8652FF52 00FFFFFF
	s_cmp_lt_u32 s82, s66                                      // 00000000D93C: BF0A4252
	s_cselect_b32 s20, s36, s60                                // 00000000D940: 85143C24
	v_readlane_b32 s82, v3, 37                                 // 00000000D944: D2890052 00014B03
	s_and_b32 s82, s82, 0xffffff                               // 00000000D94C: 8652FF52 00FFFFFF
	s_cmp_lt_u32 s82, s66                                      // 00000000D954: BF0A4252
	s_cselect_b32 s21, s36, s60                                // 00000000D958: 85153C24
	s_mov_b64 exec, s[20:21]                                   // 00000000D95C: BEFE0114
	buffer_store_dword v110, v6, s[8:11], 0 offen              // 00000000D960: E0701000 80026E06
	s_mov_b64 exec, s[36:37]                                   // 00000000D968: BEFE0124
	v_mov_b32_e32 v6, v89                                      // 00000000D96C: 7E0C0359
	s_mov_b64 s[60:61], 0                                      // 00000000D970: BEBC0180
	v_readlane_b32 s82, v3, 38                                 // 00000000D974: D2890052 00014D03
	s_and_b32 s82, s82, 0xffffff                               // 00000000D97C: 8652FF52 00FFFFFF
	s_cmp_lt_u32 s82, s66                                      // 00000000D984: BF0A4252
	s_cselect_b32 s20, s36, s60                                // 00000000D988: 85143C24
	v_readlane_b32 s82, v3, 39                                 // 00000000D98C: D2890052 00014F03
	s_and_b32 s82, s82, 0xffffff                               // 00000000D994: 8652FF52 00FFFFFF
	s_cmp_lt_u32 s82, s66                                      // 00000000D99C: BF0A4252
	s_cselect_b32 s21, s36, s60                                // 00000000D9A0: 85153C24
	s_mov_b64 exec, s[20:21]                                   // 00000000D9A4: BEFE0114
	buffer_store_dword v111, v6, s[8:11], 0 offen              // 00000000D9A8: E0701000 80026F06
	s_mov_b64 exec, s[36:37]                                   // 00000000D9B0: BEFE0124
	s_branch label_3463                                        // 00000000D9B4: BF820872

000000000000d9b8 <label_2BF1>:
	ds_write_b64 v20, v[92:93]                                 // 00000000D9B8: D89A0000 00005C14
	ds_write_b64 v20, v[96:97] offset:2176                     // 00000000D9C0: D89A0880 00006014
	ds_write_b64 v20, v[100:101] offset:4352                   // 00000000D9C8: D89A1100 00006414
	ds_write_b64 v20, v[104:105] offset:6528                   // 00000000D9D0: D89A1980 00006814
	ds_write_b64 v20, v[108:109] offset:8704                   // 00000000D9D8: D89A2200 00006C14
	ds_write_b64 v20, v[112:113] offset:10880                  // 00000000D9E0: D89A2A80 00007014
	ds_write_b64 v20, v[116:117] offset:13056                  // 00000000D9E8: D89A3300 00007414
	ds_write_b64 v20, v[120:121] offset:15232                  // 00000000D9F0: D89A3B80 00007814
	ds_write_b64 v20, v[124:125] offset:17408                  // 00000000D9F8: D89A4400 00007C14
	ds_write_b64 v20, v[128:129] offset:19584                  // 00000000DA00: D89A4C80 00008014
	v_lshrrev_b32_e32 v4, 5, v0                                // 00000000DA08: 20080085
	v_xor_b32_e32 v5, 1, v4                                    // 00000000DA0C: 2A0A0881
	s_mul_i32 s60, s65, 2                                      // 00000000DA10: 923C8241
	s_cmp_eq_u32 s88, 0                                        // 00000000DA14: BF068058
	s_cselect_b32 s61, 1, 4                                    // 00000000DA18: 853D8481
	s_mul_i32 s60, s61, s60                                    // 00000000DA1C: 923C3C3D
	v_readlane_b32 s82, v3, 0                                  // 00000000DA20: D2890052 00010103
	s_lshr_b32 s61, s82, 24                                    // 00000000DA28: 8F3D9852
	s_and_b32 s82, s82, 0xffffff                               // 00000000DA2C: 8652FF52 00FFFFFF
	s_mul_i32 s82, s82, s71                                    // 00000000DA34: 92524752
	s_mul_i32 s61, s60, s61                                    // 00000000DA38: 923D3D3C
	s_add_u32 s82, s82, s61                                    // 00000000DA3C: 80523D52
	v_mul_lo_u32 v6, v5, s82                                   // 00000000DA40: D2850006 0000A505
	v_readlane_b32 s82, v3, 1                                  // 00000000DA48: D2890052 00010303
	s_lshr_b32 s61, s82, 24                                    // 00000000DA50: 8F3D9852
	s_and_b32 s82, s82, 0xffffff                               // 00000000DA54: 8652FF52 00FFFFFF
	s_mul_i32 s82, s82, s71                                    // 00000000DA5C: 92524752
	s_mul_i32 s61, s60, s61                                    // 00000000DA60: 923D3D3C
	s_add_u32 s82, s82, s61                                    // 00000000DA64: 80523D52
	v_mul_lo_u32 v7, v4, s82                                   // 00000000DA68: D2850007 0000A504
	v_add_u32_e32 v70, v6, v7                                  // 00000000DA70: 688C0F06
	v_readlane_b32 s82, v3, 2                                  // 00000000DA74: D2890052 00010503
	s_lshr_b32 s61, s82, 24                                    // 00000000DA7C: 8F3D9852
	s_and_b32 s82, s82, 0xffffff                               // 00000000DA80: 8652FF52 00FFFFFF
	s_mul_i32 s82, s82, s71                                    // 00000000DA88: 92524752
	s_mul_i32 s61, s60, s61                                    // 00000000DA8C: 923D3D3C
	s_add_u32 s82, s82, s61                                    // 00000000DA90: 80523D52
	v_mul_lo_u32 v6, v5, s82                                   // 00000000DA94: D2850006 0000A505
	v_readlane_b32 s82, v3, 3                                  // 00000000DA9C: D2890052 00010703
	s_lshr_b32 s61, s82, 24                                    // 00000000DAA4: 8F3D9852
	s_and_b32 s82, s82, 0xffffff                               // 00000000DAA8: 8652FF52 00FFFFFF
	s_mul_i32 s82, s82, s71                                    // 00000000DAB0: 92524752
	s_mul_i32 s61, s60, s61                                    // 00000000DAB4: 923D3D3C
	s_add_u32 s82, s82, s61                                    // 00000000DAB8: 80523D52
	v_mul_lo_u32 v7, v4, s82                                   // 00000000DABC: D2850007 0000A504
	v_add_u32_e32 v71, v6, v7                                  // 00000000DAC4: 688E0F06
	v_readlane_b32 s82, v3, 4                                  // 00000000DAC8: D2890052 00010903
	s_lshr_b32 s61, s82, 24                                    // 00000000DAD0: 8F3D9852
	s_and_b32 s82, s82, 0xffffff                               // 00000000DAD4: 8652FF52 00FFFFFF
	s_mul_i32 s82, s82, s71                                    // 00000000DADC: 92524752
	s_mul_i32 s61, s60, s61                                    // 00000000DAE0: 923D3D3C
	s_add_u32 s82, s82, s61                                    // 00000000DAE4: 80523D52
	v_mul_lo_u32 v6, v5, s82                                   // 00000000DAE8: D2850006 0000A505
	v_readlane_b32 s82, v3, 5                                  // 00000000DAF0: D2890052 00010B03
	s_lshr_b32 s61, s82, 24                                    // 00000000DAF8: 8F3D9852
	s_and_b32 s82, s82, 0xffffff                               // 00000000DAFC: 8652FF52 00FFFFFF
	s_mul_i32 s82, s82, s71                                    // 00000000DB04: 92524752
	s_mul_i32 s61, s60, s61                                    // 00000000DB08: 923D3D3C
	s_add_u32 s82, s82, s61                                    // 00000000DB0C: 80523D52
	v_mul_lo_u32 v7, v4, s82                                   // 00000000DB10: D2850007 0000A504
	v_add_u32_e32 v72, v6, v7                                  // 00000000DB18: 68900F06
	v_readlane_b32 s82, v3, 6                                  // 00000000DB1C: D2890052 00010D03
	s_lshr_b32 s61, s82, 24                                    // 00000000DB24: 8F3D9852
	s_and_b32 s82, s82, 0xffffff                               // 00000000DB28: 8652FF52 00FFFFFF
	s_mul_i32 s82, s82, s71                                    // 00000000DB30: 92524752
	s_mul_i32 s61, s60, s61                                    // 00000000DB34: 923D3D3C
	s_add_u32 s82, s82, s61                                    // 00000000DB38: 80523D52
	v_mul_lo_u32 v6, v5, s82                                   // 00000000DB3C: D2850006 0000A505
	v_readlane_b32 s82, v3, 7                                  // 00000000DB44: D2890052 00010F03
	s_lshr_b32 s61, s82, 24                                    // 00000000DB4C: 8F3D9852
	s_and_b32 s82, s82, 0xffffff                               // 00000000DB50: 8652FF52 00FFFFFF
	s_mul_i32 s82, s82, s71                                    // 00000000DB58: 92524752
	s_mul_i32 s61, s60, s61                                    // 00000000DB5C: 923D3D3C
	s_add_u32 s82, s82, s61                                    // 00000000DB60: 80523D52
	v_mul_lo_u32 v7, v4, s82                                   // 00000000DB64: D2850007 0000A504
	v_add_u32_e32 v73, v6, v7                                  // 00000000DB6C: 68920F06
	v_readlane_b32 s82, v3, 8                                  // 00000000DB70: D2890052 00011103
	s_lshr_b32 s61, s82, 24                                    // 00000000DB78: 8F3D9852
	s_and_b32 s82, s82, 0xffffff                               // 00000000DB7C: 8652FF52 00FFFFFF
	s_mul_i32 s82, s82, s71                                    // 00000000DB84: 92524752
	s_mul_i32 s61, s60, s61                                    // 00000000DB88: 923D3D3C
	s_add_u32 s82, s82, s61                                    // 00000000DB8C: 80523D52
	v_mul_lo_u32 v6, v5, s82                                   // 00000000DB90: D2850006 0000A505
	v_readlane_b32 s82, v3, 9                                  // 00000000DB98: D2890052 00011303
	s_lshr_b32 s61, s82, 24                                    // 00000000DBA0: 8F3D9852
	s_and_b32 s82, s82, 0xffffff                               // 00000000DBA4: 8652FF52 00FFFFFF
	s_mul_i32 s82, s82, s71                                    // 00000000DBAC: 92524752
	s_mul_i32 s61, s60, s61                                    // 00000000DBB0: 923D3D3C
	s_add_u32 s82, s82, s61                                    // 00000000DBB4: 80523D52
	v_mul_lo_u32 v7, v4, s82                                   // 00000000DBB8: D2850007 0000A504
	v_add_u32_e32 v74, v6, v7                                  // 00000000DBC0: 68940F06
	v_readlane_b32 s82, v3, 10                                 // 00000000DBC4: D2890052 00011503
	s_lshr_b32 s61, s82, 24                                    // 00000000DBCC: 8F3D9852
	s_and_b32 s82, s82, 0xffffff                               // 00000000DBD0: 8652FF52 00FFFFFF
	s_mul_i32 s82, s82, s71                                    // 00000000DBD8: 92524752
	s_mul_i32 s61, s60, s61                                    // 00000000DBDC: 923D3D3C
	s_add_u32 s82, s82, s61                                    // 00000000DBE0: 80523D52
	v_mul_lo_u32 v6, v5, s82                                   // 00000000DBE4: D2850006 0000A505
	v_readlane_b32 s82, v3, 11                                 // 00000000DBEC: D2890052 00011703
	s_lshr_b32 s61, s82, 24                                    // 00000000DBF4: 8F3D9852
	s_and_b32 s82, s82, 0xffffff                               // 00000000DBF8: 8652FF52 00FFFFFF
	s_mul_i32 s82, s82, s71                                    // 00000000DC00: 92524752
	s_mul_i32 s61, s60, s61                                    // 00000000DC04: 923D3D3C
	s_add_u32 s82, s82, s61                                    // 00000000DC08: 80523D52
	v_mul_lo_u32 v7, v4, s82                                   // 00000000DC0C: D2850007 0000A504
	v_add_u32_e32 v75, v6, v7                                  // 00000000DC14: 68960F06
	v_readlane_b32 s82, v3, 12                                 // 00000000DC18: D2890052 00011903
	s_lshr_b32 s61, s82, 24                                    // 00000000DC20: 8F3D9852
	s_and_b32 s82, s82, 0xffffff                               // 00000000DC24: 8652FF52 00FFFFFF
	s_mul_i32 s82, s82, s71                                    // 00000000DC2C: 92524752
	s_mul_i32 s61, s60, s61                                    // 00000000DC30: 923D3D3C
	s_add_u32 s82, s82, s61                                    // 00000000DC34: 80523D52
	v_mul_lo_u32 v6, v5, s82                                   // 00000000DC38: D2850006 0000A505
	v_readlane_b32 s82, v3, 13                                 // 00000000DC40: D2890052 00011B03
	s_lshr_b32 s61, s82, 24                                    // 00000000DC48: 8F3D9852
	s_and_b32 s82, s82, 0xffffff                               // 00000000DC4C: 8652FF52 00FFFFFF
	s_mul_i32 s82, s82, s71                                    // 00000000DC54: 92524752
	s_mul_i32 s61, s60, s61                                    // 00000000DC58: 923D3D3C
	s_add_u32 s82, s82, s61                                    // 00000000DC5C: 80523D52
	v_mul_lo_u32 v7, v4, s82                                   // 00000000DC60: D2850007 0000A504
	v_add_u32_e32 v76, v6, v7                                  // 00000000DC68: 68980F06
	v_readlane_b32 s82, v3, 14                                 // 00000000DC6C: D2890052 00011D03
	s_lshr_b32 s61, s82, 24                                    // 00000000DC74: 8F3D9852
	s_and_b32 s82, s82, 0xffffff                               // 00000000DC78: 8652FF52 00FFFFFF
	s_mul_i32 s82, s82, s71                                    // 00000000DC80: 92524752
	s_mul_i32 s61, s60, s61                                    // 00000000DC84: 923D3D3C
	s_add_u32 s82, s82, s61                                    // 00000000DC88: 80523D52
	v_mul_lo_u32 v6, v5, s82                                   // 00000000DC8C: D2850006 0000A505
	v_readlane_b32 s82, v3, 15                                 // 00000000DC94: D2890052 00011F03
	s_lshr_b32 s61, s82, 24                                    // 00000000DC9C: 8F3D9852
	s_and_b32 s82, s82, 0xffffff                               // 00000000DCA0: 8652FF52 00FFFFFF
	s_mul_i32 s82, s82, s71                                    // 00000000DCA8: 92524752
	s_mul_i32 s61, s60, s61                                    // 00000000DCAC: 923D3D3C
	s_add_u32 s82, s82, s61                                    // 00000000DCB0: 80523D52
	v_mul_lo_u32 v7, v4, s82                                   // 00000000DCB4: D2850007 0000A504
	v_add_u32_e32 v77, v6, v7                                  // 00000000DCBC: 689A0F06
	v_readlane_b32 s82, v3, 16                                 // 00000000DCC0: D2890052 00012103
	s_lshr_b32 s61, s82, 24                                    // 00000000DCC8: 8F3D9852
	s_and_b32 s82, s82, 0xffffff                               // 00000000DCCC: 8652FF52 00FFFFFF
	s_mul_i32 s82, s82, s71                                    // 00000000DCD4: 92524752
	s_mul_i32 s61, s60, s61                                    // 00000000DCD8: 923D3D3C
	s_add_u32 s82, s82, s61                                    // 00000000DCDC: 80523D52
	v_mul_lo_u32 v6, v5, s82                                   // 00000000DCE0: D2850006 0000A505
	v_readlane_b32 s82, v3, 17                                 // 00000000DCE8: D2890052 00012303
	s_lshr_b32 s61, s82, 24                                    // 00000000DCF0: 8F3D9852
	s_and_b32 s82, s82, 0xffffff                               // 00000000DCF4: 8652FF52 00FFFFFF
	s_mul_i32 s82, s82, s71                                    // 00000000DCFC: 92524752
	s_mul_i32 s61, s60, s61                                    // 00000000DD00: 923D3D3C
	s_add_u32 s82, s82, s61                                    // 00000000DD04: 80523D52
	v_mul_lo_u32 v7, v4, s82                                   // 00000000DD08: D2850007 0000A504
	v_add_u32_e32 v78, v6, v7                                  // 00000000DD10: 689C0F06
	v_readlane_b32 s82, v3, 18                                 // 00000000DD14: D2890052 00012503
	s_lshr_b32 s61, s82, 24                                    // 00000000DD1C: 8F3D9852
	s_and_b32 s82, s82, 0xffffff                               // 00000000DD20: 8652FF52 00FFFFFF
	s_mul_i32 s82, s82, s71                                    // 00000000DD28: 92524752
	s_mul_i32 s61, s60, s61                                    // 00000000DD2C: 923D3D3C
	s_add_u32 s82, s82, s61                                    // 00000000DD30: 80523D52
	v_mul_lo_u32 v6, v5, s82                                   // 00000000DD34: D2850006 0000A505
	v_readlane_b32 s82, v3, 19                                 // 00000000DD3C: D2890052 00012703
	s_lshr_b32 s61, s82, 24                                    // 00000000DD44: 8F3D9852
	s_and_b32 s82, s82, 0xffffff                               // 00000000DD48: 8652FF52 00FFFFFF
	s_mul_i32 s82, s82, s71                                    // 00000000DD50: 92524752
	s_mul_i32 s61, s60, s61                                    // 00000000DD54: 923D3D3C
	s_add_u32 s82, s82, s61                                    // 00000000DD58: 80523D52
	v_mul_lo_u32 v7, v4, s82                                   // 00000000DD5C: D2850007 0000A504
	v_add_u32_e32 v79, v6, v7                                  // 00000000DD64: 689E0F06
	v_readlane_b32 s82, v3, 20                                 // 00000000DD68: D2890052 00012903
	s_lshr_b32 s61, s82, 24                                    // 00000000DD70: 8F3D9852
	s_and_b32 s82, s82, 0xffffff                               // 00000000DD74: 8652FF52 00FFFFFF
	s_mul_i32 s82, s82, s71                                    // 00000000DD7C: 92524752
	s_mul_i32 s61, s60, s61                                    // 00000000DD80: 923D3D3C
	s_add_u32 s82, s82, s61                                    // 00000000DD84: 80523D52
	v_mul_lo_u32 v6, v5, s82                                   // 00000000DD88: D2850006 0000A505
	v_readlane_b32 s82, v3, 21                                 // 00000000DD90: D2890052 00012B03
	s_lshr_b32 s61, s82, 24                                    // 00000000DD98: 8F3D9852
	s_and_b32 s82, s82, 0xffffff                               // 00000000DD9C: 8652FF52 00FFFFFF
	s_mul_i32 s82, s82, s71                                    // 00000000DDA4: 92524752
	s_mul_i32 s61, s60, s61                                    // 00000000DDA8: 923D3D3C
	s_add_u32 s82, s82, s61                                    // 00000000DDAC: 80523D52
	v_mul_lo_u32 v7, v4, s82                                   // 00000000DDB0: D2850007 0000A504
	v_add_u32_e32 v80, v6, v7                                  // 00000000DDB8: 68A00F06
	v_readlane_b32 s82, v3, 22                                 // 00000000DDBC: D2890052 00012D03
	s_lshr_b32 s61, s82, 24                                    // 00000000DDC4: 8F3D9852
	s_and_b32 s82, s82, 0xffffff                               // 00000000DDC8: 8652FF52 00FFFFFF
	s_mul_i32 s82, s82, s71                                    // 00000000DDD0: 92524752
	s_mul_i32 s61, s60, s61                                    // 00000000DDD4: 923D3D3C
	s_add_u32 s82, s82, s61                                    // 00000000DDD8: 80523D52
	v_mul_lo_u32 v6, v5, s82                                   // 00000000DDDC: D2850006 0000A505
	v_readlane_b32 s82, v3, 23                                 // 00000000DDE4: D2890052 00012F03
	s_lshr_b32 s61, s82, 24                                    // 00000000DDEC: 8F3D9852
	s_and_b32 s82, s82, 0xffffff                               // 00000000DDF0: 8652FF52 00FFFFFF
	s_mul_i32 s82, s82, s71                                    // 00000000DDF8: 92524752
	s_mul_i32 s61, s60, s61                                    // 00000000DDFC: 923D3D3C
	s_add_u32 s82, s82, s61                                    // 00000000DE00: 80523D52
	v_mul_lo_u32 v7, v4, s82                                   // 00000000DE04: D2850007 0000A504
	v_add_u32_e32 v81, v6, v7                                  // 00000000DE0C: 68A20F06
	v_readlane_b32 s82, v3, 24                                 // 00000000DE10: D2890052 00013103
	s_lshr_b32 s61, s82, 24                                    // 00000000DE18: 8F3D9852
	s_and_b32 s82, s82, 0xffffff                               // 00000000DE1C: 8652FF52 00FFFFFF
	s_mul_i32 s82, s82, s71                                    // 00000000DE24: 92524752
	s_mul_i32 s61, s60, s61                                    // 00000000DE28: 923D3D3C
	s_add_u32 s82, s82, s61                                    // 00000000DE2C: 80523D52
	v_mul_lo_u32 v6, v5, s82                                   // 00000000DE30: D2850006 0000A505
	v_readlane_b32 s82, v3, 25                                 // 00000000DE38: D2890052 00013303
	s_lshr_b32 s61, s82, 24                                    // 00000000DE40: 8F3D9852
	s_and_b32 s82, s82, 0xffffff                               // 00000000DE44: 8652FF52 00FFFFFF
	s_mul_i32 s82, s82, s71                                    // 00000000DE4C: 92524752
	s_mul_i32 s61, s60, s61                                    // 00000000DE50: 923D3D3C
	s_add_u32 s82, s82, s61                                    // 00000000DE54: 80523D52
	v_mul_lo_u32 v7, v4, s82                                   // 00000000DE58: D2850007 0000A504
	v_add_u32_e32 v82, v6, v7                                  // 00000000DE60: 68A40F06
	v_readlane_b32 s82, v3, 26                                 // 00000000DE64: D2890052 00013503
	s_lshr_b32 s61, s82, 24                                    // 00000000DE6C: 8F3D9852
	s_and_b32 s82, s82, 0xffffff                               // 00000000DE70: 8652FF52 00FFFFFF
	s_mul_i32 s82, s82, s71                                    // 00000000DE78: 92524752
	s_mul_i32 s61, s60, s61                                    // 00000000DE7C: 923D3D3C
	s_add_u32 s82, s82, s61                                    // 00000000DE80: 80523D52
	v_mul_lo_u32 v6, v5, s82                                   // 00000000DE84: D2850006 0000A505
	v_readlane_b32 s82, v3, 27                                 // 00000000DE8C: D2890052 00013703
	s_lshr_b32 s61, s82, 24                                    // 00000000DE94: 8F3D9852
	s_and_b32 s82, s82, 0xffffff                               // 00000000DE98: 8652FF52 00FFFFFF
	s_mul_i32 s82, s82, s71                                    // 00000000DEA0: 92524752
	s_mul_i32 s61, s60, s61                                    // 00000000DEA4: 923D3D3C
	s_add_u32 s82, s82, s61                                    // 00000000DEA8: 80523D52
	v_mul_lo_u32 v7, v4, s82                                   // 00000000DEAC: D2850007 0000A504
	v_add_u32_e32 v83, v6, v7                                  // 00000000DEB4: 68A60F06
	v_readlane_b32 s82, v3, 28                                 // 00000000DEB8: D2890052 00013903
	s_lshr_b32 s61, s82, 24                                    // 00000000DEC0: 8F3D9852
	s_and_b32 s82, s82, 0xffffff                               // 00000000DEC4: 8652FF52 00FFFFFF
	s_mul_i32 s82, s82, s71                                    // 00000000DECC: 92524752
	s_mul_i32 s61, s60, s61                                    // 00000000DED0: 923D3D3C
	s_add_u32 s82, s82, s61                                    // 00000000DED4: 80523D52
	v_mul_lo_u32 v6, v5, s82                                   // 00000000DED8: D2850006 0000A505
	v_readlane_b32 s82, v3, 29                                 // 00000000DEE0: D2890052 00013B03
	s_lshr_b32 s61, s82, 24                                    // 00000000DEE8: 8F3D9852
	s_and_b32 s82, s82, 0xffffff                               // 00000000DEEC: 8652FF52 00FFFFFF
	s_mul_i32 s82, s82, s71                                    // 00000000DEF4: 92524752
	s_mul_i32 s61, s60, s61                                    // 00000000DEF8: 923D3D3C
	s_add_u32 s82, s82, s61                                    // 00000000DEFC: 80523D52
	v_mul_lo_u32 v7, v4, s82                                   // 00000000DF00: D2850007 0000A504
	v_add_u32_e32 v84, v6, v7                                  // 00000000DF08: 68A80F06
	v_readlane_b32 s82, v3, 30                                 // 00000000DF0C: D2890052 00013D03
	s_lshr_b32 s61, s82, 24                                    // 00000000DF14: 8F3D9852
	s_and_b32 s82, s82, 0xffffff                               // 00000000DF18: 8652FF52 00FFFFFF
	s_mul_i32 s82, s82, s71                                    // 00000000DF20: 92524752
	s_mul_i32 s61, s60, s61                                    // 00000000DF24: 923D3D3C
	s_add_u32 s82, s82, s61                                    // 00000000DF28: 80523D52
	v_mul_lo_u32 v6, v5, s82                                   // 00000000DF2C: D2850006 0000A505
	v_readlane_b32 s82, v3, 31                                 // 00000000DF34: D2890052 00013F03
	s_lshr_b32 s61, s82, 24                                    // 00000000DF3C: 8F3D9852
	s_and_b32 s82, s82, 0xffffff                               // 00000000DF40: 8652FF52 00FFFFFF
	s_mul_i32 s82, s82, s71                                    // 00000000DF48: 92524752
	s_mul_i32 s61, s60, s61                                    // 00000000DF4C: 923D3D3C
	s_add_u32 s82, s82, s61                                    // 00000000DF50: 80523D52
	v_mul_lo_u32 v7, v4, s82                                   // 00000000DF54: D2850007 0000A504
	v_add_u32_e32 v85, v6, v7                                  // 00000000DF5C: 68AA0F06
	v_readlane_b32 s82, v3, 32                                 // 00000000DF60: D2890052 00014103
	s_lshr_b32 s61, s82, 24                                    // 00000000DF68: 8F3D9852
	s_and_b32 s82, s82, 0xffffff                               // 00000000DF6C: 8652FF52 00FFFFFF
	s_mul_i32 s82, s82, s71                                    // 00000000DF74: 92524752
	s_mul_i32 s61, s60, s61                                    // 00000000DF78: 923D3D3C
	s_add_u32 s82, s82, s61                                    // 00000000DF7C: 80523D52
	v_mul_lo_u32 v6, v5, s82                                   // 00000000DF80: D2850006 0000A505
	v_readlane_b32 s82, v3, 33                                 // 00000000DF88: D2890052 00014303
	s_lshr_b32 s61, s82, 24                                    // 00000000DF90: 8F3D9852
	s_and_b32 s82, s82, 0xffffff                               // 00000000DF94: 8652FF52 00FFFFFF
	s_mul_i32 s82, s82, s71                                    // 00000000DF9C: 92524752
	s_mul_i32 s61, s60, s61                                    // 00000000DFA0: 923D3D3C
	s_add_u32 s82, s82, s61                                    // 00000000DFA4: 80523D52
	v_mul_lo_u32 v7, v4, s82                                   // 00000000DFA8: D2850007 0000A504
	v_add_u32_e32 v86, v6, v7                                  // 00000000DFB0: 68AC0F06
	v_readlane_b32 s82, v3, 34                                 // 00000000DFB4: D2890052 00014503
	s_lshr_b32 s61, s82, 24                                    // 00000000DFBC: 8F3D9852
	s_and_b32 s82, s82, 0xffffff                               // 00000000DFC0: 8652FF52 00FFFFFF
	s_mul_i32 s82, s82, s71                                    // 00000000DFC8: 92524752
	s_mul_i32 s61, s60, s61                                    // 00000000DFCC: 923D3D3C
	s_add_u32 s82, s82, s61                                    // 00000000DFD0: 80523D52
	v_mul_lo_u32 v6, v5, s82                                   // 00000000DFD4: D2850006 0000A505
	v_readlane_b32 s82, v3, 35                                 // 00000000DFDC: D2890052 00014703
	s_lshr_b32 s61, s82, 24                                    // 00000000DFE4: 8F3D9852
	s_and_b32 s82, s82, 0xffffff                               // 00000000DFE8: 8652FF52 00FFFFFF
	s_mul_i32 s82, s82, s71                                    // 00000000DFF0: 92524752
	s_mul_i32 s61, s60, s61                                    // 00000000DFF4: 923D3D3C
	s_add_u32 s82, s82, s61                                    // 00000000DFF8: 80523D52
	v_mul_lo_u32 v7, v4, s82                                   // 00000000DFFC: D2850007 0000A504
	v_add_u32_e32 v87, v6, v7                                  // 00000000E004: 68AE0F06
	v_readlane_b32 s82, v3, 36                                 // 00000000E008: D2890052 00014903
	s_lshr_b32 s61, s82, 24                                    // 00000000E010: 8F3D9852
	s_and_b32 s82, s82, 0xffffff                               // 00000000E014: 8652FF52 00FFFFFF
	s_mul_i32 s82, s82, s71                                    // 00000000E01C: 92524752
	s_mul_i32 s61, s60, s61                                    // 00000000E020: 923D3D3C
	s_add_u32 s82, s82, s61                                    // 00000000E024: 80523D52
	v_mul_lo_u32 v6, v5, s82                                   // 00000000E028: D2850006 0000A505
	v_readlane_b32 s82, v3, 37                                 // 00000000E030: D2890052 00014B03
	s_lshr_b32 s61, s82, 24                                    // 00000000E038: 8F3D9852
	s_and_b32 s82, s82, 0xffffff                               // 00000000E03C: 8652FF52 00FFFFFF
	s_mul_i32 s82, s82, s71                                    // 00000000E044: 92524752
	s_mul_i32 s61, s60, s61                                    // 00000000E048: 923D3D3C
	s_add_u32 s82, s82, s61                                    // 00000000E04C: 80523D52
	v_mul_lo_u32 v7, v4, s82                                   // 00000000E050: D2850007 0000A504
	v_add_u32_e32 v88, v6, v7                                  // 00000000E058: 68B00F06
	v_readlane_b32 s82, v3, 38                                 // 00000000E05C: D2890052 00014D03
	s_lshr_b32 s61, s82, 24                                    // 00000000E064: 8F3D9852
	s_and_b32 s82, s82, 0xffffff                               // 00000000E068: 8652FF52 00FFFFFF
	s_mul_i32 s82, s82, s71                                    // 00000000E070: 92524752
	s_mul_i32 s61, s60, s61                                    // 00000000E074: 923D3D3C
	s_add_u32 s82, s82, s61                                    // 00000000E078: 80523D52
	v_mul_lo_u32 v6, v5, s82                                   // 00000000E07C: D2850006 0000A505
	v_readlane_b32 s82, v3, 39                                 // 00000000E084: D2890052 00014F03
	s_lshr_b32 s61, s82, 24                                    // 00000000E08C: 8F3D9852
	s_and_b32 s82, s82, 0xffffff                               // 00000000E090: 8652FF52 00FFFFFF
	s_mul_i32 s82, s82, s71                                    // 00000000E098: 92524752
	s_mul_i32 s61, s60, s61                                    // 00000000E09C: 923D3D3C
	s_add_u32 s82, s82, s61                                    // 00000000E0A0: 80523D52
	v_mul_lo_u32 v7, v4, s82                                   // 00000000E0A4: D2850007 0000A504
	v_add_u32_e32 v89, v6, v7                                  // 00000000E0AC: 68B20F06
	v_and_b32_e32 v4, 31, v0                                   // 00000000E0B0: 2608009F
	v_lshrrev_b32_e32 v4, 1, v4                                // 00000000E0B4: 20080881
	s_cmp_eq_u32 s88, 0                                        // 00000000E0B8: BF068058
	s_cselect_b32 s61, 2, 4                                    // 00000000E0BC: 853D8482
	v_mul_lo_u32 v4, v4, s61                                   // 00000000E0C0: D2850004 00007B04
	v_and_b32_e64 v5, v0, 1                                    // 00000000E0C8: D1130005 00010300
	v_add_u32_e32 v4, v4, v5                                   // 00000000E0D0: 68080B04
	v_lshlrev_b32_e32 v4, 2, v4                                // 00000000E0D4: 24080882
	v_add_u32_e32 v70, v70, v4                                 // 00000000E0D8: 688C0946
	v_add_u32_e32 v71, v71, v4                                 // 00000000E0DC: 688E0947
	v_add_u32_e32 v72, v72, v4                                 // 00000000E0E0: 68900948
	v_add_u32_e32 v73, v73, v4                                 // 00000000E0E4: 68920949
	v_add_u32_e32 v74, v74, v4                                 // 00000000E0E8: 6894094A
	v_add_u32_e32 v75, v75, v4                                 // 00000000E0EC: 6896094B
	v_add_u32_e32 v76, v76, v4                                 // 00000000E0F0: 6898094C
	v_add_u32_e32 v77, v77, v4                                 // 00000000E0F4: 689A094D
	v_add_u32_e32 v78, v78, v4                                 // 00000000E0F8: 689C094E
	v_add_u32_e32 v79, v79, v4                                 // 00000000E0FC: 689E094F
	v_add_u32_e32 v80, v80, v4                                 // 00000000E100: 68A00950
	v_add_u32_e32 v81, v81, v4                                 // 00000000E104: 68A20951
	v_add_u32_e32 v82, v82, v4                                 // 00000000E108: 68A40952
	v_add_u32_e32 v83, v83, v4                                 // 00000000E10C: 68A60953
	v_add_u32_e32 v84, v84, v4                                 // 00000000E110: 68A80954
	v_add_u32_e32 v85, v85, v4                                 // 00000000E114: 68AA0955
	v_add_u32_e32 v86, v86, v4                                 // 00000000E118: 68AC0956
	v_add_u32_e32 v87, v87, v4                                 // 00000000E11C: 68AE0957
	v_add_u32_e32 v88, v88, v4                                 // 00000000E120: 68B00958
	v_add_u32_e32 v89, v89, v4                                 // 00000000E124: 68B20959
	s_waitcnt lgkmcnt(0)                                       // 00000000E128: BF8CC07F
	s_barrier                                                  // 00000000E12C: BF8A0000
	ds_read_b32 v92, v21                                       // 00000000E130: D86C0000 5C000015
	ds_read_b32 v93, v21 offset:64                             // 00000000E138: D86C0040 5D000015
	ds_read_b32 v96, v21 offset:2176                           // 00000000E140: D86C0880 60000015
	ds_read_b32 v97, v21 offset:2240                           // 00000000E148: D86C08C0 61000015
	ds_read_b32 v100, v21 offset:4352                          // 00000000E150: D86C1100 64000015
	ds_read_b32 v101, v21 offset:4416                          // 00000000E158: D86C1140 65000015
	ds_read_b32 v104, v21 offset:6528                          // 00000000E160: D86C1980 68000015
	ds_read_b32 v105, v21 offset:6592                          // 00000000E168: D86C19C0 69000015
	ds_read_b32 v108, v21 offset:8704                          // 00000000E170: D86C2200 6C000015
	ds_read_b32 v109, v21 offset:8768                          // 00000000E178: D86C2240 6D000015
	ds_read_b32 v112, v21 offset:10880                         // 00000000E180: D86C2A80 70000015
	ds_read_b32 v113, v21 offset:10944                         // 00000000E188: D86C2AC0 71000015
	ds_read_b32 v116, v21 offset:13056                         // 00000000E190: D86C3300 74000015
	ds_read_b32 v117, v21 offset:13120                         // 00000000E198: D86C3340 75000015
	ds_read_b32 v120, v21 offset:15232                         // 00000000E1A0: D86C3B80 78000015
	ds_read_b32 v121, v21 offset:15296                         // 00000000E1A8: D86C3BC0 79000015
	ds_read_b32 v124, v21 offset:17408                         // 00000000E1B0: D86C4400 7C000015
	ds_read_b32 v125, v21 offset:17472                         // 00000000E1B8: D86C4440 7D000015
	ds_read_b32 v128, v21 offset:19584                         // 00000000E1C0: D86C4C80 80000015
	ds_read_b32 v129, v21 offset:19648                         // 00000000E1C8: D86C4CC0 81000015
	s_waitcnt lgkmcnt(0)                                       // 00000000E1D0: BF8CC07F
	s_mov_b32 s36, -1                                          // 00000000E1D4: BEA400C1
	s_mov_b32 s37, -1                                          // 00000000E1D8: BEA500C1
	v_mov_b32_e32 v7, 0                                        // 00000000E1DC: 7E0E0280
	s_mov_b64 exec, s[36:37]                                   // 00000000E1E0: BEFE0124
	v_mov_b32_e32 v6, v70                                      // 00000000E1E4: 7E0C0346
	s_mov_b64 s[60:61], 0                                      // 00000000E1E8: BEBC0180
	v_readlane_b32 s82, v3, 0                                  // 00000000E1EC: D2890052 00010103
	s_and_b32 s82, s82, 0xffffff                               // 00000000E1F4: 8652FF52 00FFFFFF
	s_cmp_lt_u32 s82, s66                                      // 00000000E1FC: BF0A4252
	s_cselect_b32 s20, s36, s60                                // 00000000E200: 85143C24
	v_readlane_b32 s82, v3, 1                                  // 00000000E204: D2890052 00010303
	s_and_b32 s82, s82, 0xffffff                               // 00000000E20C: 8652FF52 00FFFFFF
	s_cmp_lt_u32 s82, s66                                      // 00000000E214: BF0A4252
	s_cselect_b32 s21, s36, s60                                // 00000000E218: 85153C24
	s_mov_b64 exec, s[20:21]                                   // 00000000E21C: BEFE0114
	global_atomic_add_f32 v6, v92, s[8:9]                      // 00000000E220: DD348000 00085C06
	s_mov_b64 exec, s[36:37]                                   // 00000000E228: BEFE0124
	v_mov_b32_e32 v6, v71                                      // 00000000E22C: 7E0C0347
	s_mov_b64 s[60:61], 0                                      // 00000000E230: BEBC0180
	v_readlane_b32 s82, v3, 2                                  // 00000000E234: D2890052 00010503
	s_and_b32 s82, s82, 0xffffff                               // 00000000E23C: 8652FF52 00FFFFFF
	s_cmp_lt_u32 s82, s66                                      // 00000000E244: BF0A4252
	s_cselect_b32 s20, s36, s60                                // 00000000E248: 85143C24
	v_readlane_b32 s82, v3, 3                                  // 00000000E24C: D2890052 00010703
	s_and_b32 s82, s82, 0xffffff                               // 00000000E254: 8652FF52 00FFFFFF
	s_cmp_lt_u32 s82, s66                                      // 00000000E25C: BF0A4252
	s_cselect_b32 s21, s36, s60                                // 00000000E260: 85153C24
	s_mov_b64 exec, s[20:21]                                   // 00000000E264: BEFE0114
	global_atomic_add_f32 v6, v93, s[8:9]                      // 00000000E268: DD348000 00085D06
	s_mov_b64 exec, s[36:37]                                   // 00000000E270: BEFE0124
	v_mov_b32_e32 v6, v72                                      // 00000000E274: 7E0C0348
	s_mov_b64 s[60:61], 0                                      // 00000000E278: BEBC0180
	v_readlane_b32 s82, v3, 4                                  // 00000000E27C: D2890052 00010903
	s_and_b32 s82, s82, 0xffffff                               // 00000000E284: 8652FF52 00FFFFFF
	s_cmp_lt_u32 s82, s66                                      // 00000000E28C: BF0A4252
	s_cselect_b32 s20, s36, s60                                // 00000000E290: 85143C24
	v_readlane_b32 s82, v3, 5                                  // 00000000E294: D2890052 00010B03
	s_and_b32 s82, s82, 0xffffff                               // 00000000E29C: 8652FF52 00FFFFFF
	s_cmp_lt_u32 s82, s66                                      // 00000000E2A4: BF0A4252
	s_cselect_b32 s21, s36, s60                                // 00000000E2A8: 85153C24
	s_mov_b64 exec, s[20:21]                                   // 00000000E2AC: BEFE0114
	global_atomic_add_f32 v6, v96, s[8:9]                      // 00000000E2B0: DD348000 00086006
	s_mov_b64 exec, s[36:37]                                   // 00000000E2B8: BEFE0124
	v_mov_b32_e32 v6, v73                                      // 00000000E2BC: 7E0C0349
	s_mov_b64 s[60:61], 0                                      // 00000000E2C0: BEBC0180
	v_readlane_b32 s82, v3, 6                                  // 00000000E2C4: D2890052 00010D03
	s_and_b32 s82, s82, 0xffffff                               // 00000000E2CC: 8652FF52 00FFFFFF
	s_cmp_lt_u32 s82, s66                                      // 00000000E2D4: BF0A4252
	s_cselect_b32 s20, s36, s60                                // 00000000E2D8: 85143C24
	v_readlane_b32 s82, v3, 7                                  // 00000000E2DC: D2890052 00010F03
	s_and_b32 s82, s82, 0xffffff                               // 00000000E2E4: 8652FF52 00FFFFFF
	s_cmp_lt_u32 s82, s66                                      // 00000000E2EC: BF0A4252
	s_cselect_b32 s21, s36, s60                                // 00000000E2F0: 85153C24
	s_mov_b64 exec, s[20:21]                                   // 00000000E2F4: BEFE0114
	global_atomic_add_f32 v6, v97, s[8:9]                      // 00000000E2F8: DD348000 00086106
	s_mov_b64 exec, s[36:37]                                   // 00000000E300: BEFE0124
	v_mov_b32_e32 v6, v74                                      // 00000000E304: 7E0C034A
	s_mov_b64 s[60:61], 0                                      // 00000000E308: BEBC0180
	v_readlane_b32 s82, v3, 8                                  // 00000000E30C: D2890052 00011103
	s_and_b32 s82, s82, 0xffffff                               // 00000000E314: 8652FF52 00FFFFFF
	s_cmp_lt_u32 s82, s66                                      // 00000000E31C: BF0A4252
	s_cselect_b32 s20, s36, s60                                // 00000000E320: 85143C24
	v_readlane_b32 s82, v3, 9                                  // 00000000E324: D2890052 00011303
	s_and_b32 s82, s82, 0xffffff                               // 00000000E32C: 8652FF52 00FFFFFF
	s_cmp_lt_u32 s82, s66                                      // 00000000E334: BF0A4252
	s_cselect_b32 s21, s36, s60                                // 00000000E338: 85153C24
	s_mov_b64 exec, s[20:21]                                   // 00000000E33C: BEFE0114
	global_atomic_add_f32 v6, v100, s[8:9]                     // 00000000E340: DD348000 00086406
	s_mov_b64 exec, s[36:37]                                   // 00000000E348: BEFE0124
	v_mov_b32_e32 v6, v75                                      // 00000000E34C: 7E0C034B
	s_mov_b64 s[60:61], 0                                      // 00000000E350: BEBC0180
	v_readlane_b32 s82, v3, 10                                 // 00000000E354: D2890052 00011503
	s_and_b32 s82, s82, 0xffffff                               // 00000000E35C: 8652FF52 00FFFFFF
	s_cmp_lt_u32 s82, s66                                      // 00000000E364: BF0A4252
	s_cselect_b32 s20, s36, s60                                // 00000000E368: 85143C24
	v_readlane_b32 s82, v3, 11                                 // 00000000E36C: D2890052 00011703
	s_and_b32 s82, s82, 0xffffff                               // 00000000E374: 8652FF52 00FFFFFF
	s_cmp_lt_u32 s82, s66                                      // 00000000E37C: BF0A4252
	s_cselect_b32 s21, s36, s60                                // 00000000E380: 85153C24
	s_mov_b64 exec, s[20:21]                                   // 00000000E384: BEFE0114
	global_atomic_add_f32 v6, v101, s[8:9]                     // 00000000E388: DD348000 00086506
	s_mov_b64 exec, s[36:37]                                   // 00000000E390: BEFE0124
	v_mov_b32_e32 v6, v76                                      // 00000000E394: 7E0C034C
	s_mov_b64 s[60:61], 0                                      // 00000000E398: BEBC0180
	v_readlane_b32 s82, v3, 12                                 // 00000000E39C: D2890052 00011903
	s_and_b32 s82, s82, 0xffffff                               // 00000000E3A4: 8652FF52 00FFFFFF
	s_cmp_lt_u32 s82, s66                                      // 00000000E3AC: BF0A4252
	s_cselect_b32 s20, s36, s60                                // 00000000E3B0: 85143C24
	v_readlane_b32 s82, v3, 13                                 // 00000000E3B4: D2890052 00011B03
	s_and_b32 s82, s82, 0xffffff                               // 00000000E3BC: 8652FF52 00FFFFFF
	s_cmp_lt_u32 s82, s66                                      // 00000000E3C4: BF0A4252
	s_cselect_b32 s21, s36, s60                                // 00000000E3C8: 85153C24
	s_mov_b64 exec, s[20:21]                                   // 00000000E3CC: BEFE0114
	global_atomic_add_f32 v6, v104, s[8:9]                     // 00000000E3D0: DD348000 00086806
	s_mov_b64 exec, s[36:37]                                   // 00000000E3D8: BEFE0124
	v_mov_b32_e32 v6, v77                                      // 00000000E3DC: 7E0C034D
	s_mov_b64 s[60:61], 0                                      // 00000000E3E0: BEBC0180
	v_readlane_b32 s82, v3, 14                                 // 00000000E3E4: D2890052 00011D03
	s_and_b32 s82, s82, 0xffffff                               // 00000000E3EC: 8652FF52 00FFFFFF
	s_cmp_lt_u32 s82, s66                                      // 00000000E3F4: BF0A4252
	s_cselect_b32 s20, s36, s60                                // 00000000E3F8: 85143C24
	v_readlane_b32 s82, v3, 15                                 // 00000000E3FC: D2890052 00011F03
	s_and_b32 s82, s82, 0xffffff                               // 00000000E404: 8652FF52 00FFFFFF
	s_cmp_lt_u32 s82, s66                                      // 00000000E40C: BF0A4252
	s_cselect_b32 s21, s36, s60                                // 00000000E410: 85153C24
	s_mov_b64 exec, s[20:21]                                   // 00000000E414: BEFE0114
	global_atomic_add_f32 v6, v105, s[8:9]                     // 00000000E418: DD348000 00086906
	s_mov_b64 exec, s[36:37]                                   // 00000000E420: BEFE0124
	v_mov_b32_e32 v6, v78                                      // 00000000E424: 7E0C034E
	s_mov_b64 s[60:61], 0                                      // 00000000E428: BEBC0180
	v_readlane_b32 s82, v3, 16                                 // 00000000E42C: D2890052 00012103
	s_and_b32 s82, s82, 0xffffff                               // 00000000E434: 8652FF52 00FFFFFF
	s_cmp_lt_u32 s82, s66                                      // 00000000E43C: BF0A4252
	s_cselect_b32 s20, s36, s60                                // 00000000E440: 85143C24
	v_readlane_b32 s82, v3, 17                                 // 00000000E444: D2890052 00012303
	s_and_b32 s82, s82, 0xffffff                               // 00000000E44C: 8652FF52 00FFFFFF
	s_cmp_lt_u32 s82, s66                                      // 00000000E454: BF0A4252
	s_cselect_b32 s21, s36, s60                                // 00000000E458: 85153C24
	s_mov_b64 exec, s[20:21]                                   // 00000000E45C: BEFE0114
	global_atomic_add_f32 v6, v108, s[8:9]                     // 00000000E460: DD348000 00086C06
	s_mov_b64 exec, s[36:37]                                   // 00000000E468: BEFE0124
	v_mov_b32_e32 v6, v79                                      // 00000000E46C: 7E0C034F
	s_mov_b64 s[60:61], 0                                      // 00000000E470: BEBC0180
	v_readlane_b32 s82, v3, 18                                 // 00000000E474: D2890052 00012503
	s_and_b32 s82, s82, 0xffffff                               // 00000000E47C: 8652FF52 00FFFFFF
	s_cmp_lt_u32 s82, s66                                      // 00000000E484: BF0A4252
	s_cselect_b32 s20, s36, s60                                // 00000000E488: 85143C24
	v_readlane_b32 s82, v3, 19                                 // 00000000E48C: D2890052 00012703
	s_and_b32 s82, s82, 0xffffff                               // 00000000E494: 8652FF52 00FFFFFF
	s_cmp_lt_u32 s82, s66                                      // 00000000E49C: BF0A4252
	s_cselect_b32 s21, s36, s60                                // 00000000E4A0: 85153C24
	s_mov_b64 exec, s[20:21]                                   // 00000000E4A4: BEFE0114
	global_atomic_add_f32 v6, v109, s[8:9]                     // 00000000E4A8: DD348000 00086D06
	s_mov_b64 exec, s[36:37]                                   // 00000000E4B0: BEFE0124
	v_mov_b32_e32 v6, v80                                      // 00000000E4B4: 7E0C0350
	s_mov_b64 s[60:61], 0                                      // 00000000E4B8: BEBC0180
	v_readlane_b32 s82, v3, 20                                 // 00000000E4BC: D2890052 00012903
	s_and_b32 s82, s82, 0xffffff                               // 00000000E4C4: 8652FF52 00FFFFFF
	s_cmp_lt_u32 s82, s66                                      // 00000000E4CC: BF0A4252
	s_cselect_b32 s20, s36, s60                                // 00000000E4D0: 85143C24
	v_readlane_b32 s82, v3, 21                                 // 00000000E4D4: D2890052 00012B03
	s_and_b32 s82, s82, 0xffffff                               // 00000000E4DC: 8652FF52 00FFFFFF
	s_cmp_lt_u32 s82, s66                                      // 00000000E4E4: BF0A4252
	s_cselect_b32 s21, s36, s60                                // 00000000E4E8: 85153C24
	s_mov_b64 exec, s[20:21]                                   // 00000000E4EC: BEFE0114
	global_atomic_add_f32 v6, v112, s[8:9]                     // 00000000E4F0: DD348000 00087006
	s_mov_b64 exec, s[36:37]                                   // 00000000E4F8: BEFE0124
	v_mov_b32_e32 v6, v81                                      // 00000000E4FC: 7E0C0351
	s_mov_b64 s[60:61], 0                                      // 00000000E500: BEBC0180
	v_readlane_b32 s82, v3, 22                                 // 00000000E504: D2890052 00012D03
	s_and_b32 s82, s82, 0xffffff                               // 00000000E50C: 8652FF52 00FFFFFF
	s_cmp_lt_u32 s82, s66                                      // 00000000E514: BF0A4252
	s_cselect_b32 s20, s36, s60                                // 00000000E518: 85143C24
	v_readlane_b32 s82, v3, 23                                 // 00000000E51C: D2890052 00012F03
	s_and_b32 s82, s82, 0xffffff                               // 00000000E524: 8652FF52 00FFFFFF
	s_cmp_lt_u32 s82, s66                                      // 00000000E52C: BF0A4252
	s_cselect_b32 s21, s36, s60                                // 00000000E530: 85153C24
	s_mov_b64 exec, s[20:21]                                   // 00000000E534: BEFE0114
	global_atomic_add_f32 v6, v113, s[8:9]                     // 00000000E538: DD348000 00087106
	s_mov_b64 exec, s[36:37]                                   // 00000000E540: BEFE0124
	v_mov_b32_e32 v6, v82                                      // 00000000E544: 7E0C0352
	s_mov_b64 s[60:61], 0                                      // 00000000E548: BEBC0180
	v_readlane_b32 s82, v3, 24                                 // 00000000E54C: D2890052 00013103
	s_and_b32 s82, s82, 0xffffff                               // 00000000E554: 8652FF52 00FFFFFF
	s_cmp_lt_u32 s82, s66                                      // 00000000E55C: BF0A4252
	s_cselect_b32 s20, s36, s60                                // 00000000E560: 85143C24
	v_readlane_b32 s82, v3, 25                                 // 00000000E564: D2890052 00013303
	s_and_b32 s82, s82, 0xffffff                               // 00000000E56C: 8652FF52 00FFFFFF
	s_cmp_lt_u32 s82, s66                                      // 00000000E574: BF0A4252
	s_cselect_b32 s21, s36, s60                                // 00000000E578: 85153C24
	s_mov_b64 exec, s[20:21]                                   // 00000000E57C: BEFE0114
	global_atomic_add_f32 v6, v116, s[8:9]                     // 00000000E580: DD348000 00087406
	s_mov_b64 exec, s[36:37]                                   // 00000000E588: BEFE0124
	v_mov_b32_e32 v6, v83                                      // 00000000E58C: 7E0C0353
	s_mov_b64 s[60:61], 0                                      // 00000000E590: BEBC0180
	v_readlane_b32 s82, v3, 26                                 // 00000000E594: D2890052 00013503
	s_and_b32 s82, s82, 0xffffff                               // 00000000E59C: 8652FF52 00FFFFFF
	s_cmp_lt_u32 s82, s66                                      // 00000000E5A4: BF0A4252
	s_cselect_b32 s20, s36, s60                                // 00000000E5A8: 85143C24
	v_readlane_b32 s82, v3, 27                                 // 00000000E5AC: D2890052 00013703
	s_and_b32 s82, s82, 0xffffff                               // 00000000E5B4: 8652FF52 00FFFFFF
	s_cmp_lt_u32 s82, s66                                      // 00000000E5BC: BF0A4252
	s_cselect_b32 s21, s36, s60                                // 00000000E5C0: 85153C24
	s_mov_b64 exec, s[20:21]                                   // 00000000E5C4: BEFE0114
	global_atomic_add_f32 v6, v117, s[8:9]                     // 00000000E5C8: DD348000 00087506
	s_mov_b64 exec, s[36:37]                                   // 00000000E5D0: BEFE0124
	v_mov_b32_e32 v6, v84                                      // 00000000E5D4: 7E0C0354
	s_mov_b64 s[60:61], 0                                      // 00000000E5D8: BEBC0180
	v_readlane_b32 s82, v3, 28                                 // 00000000E5DC: D2890052 00013903
	s_and_b32 s82, s82, 0xffffff                               // 00000000E5E4: 8652FF52 00FFFFFF
	s_cmp_lt_u32 s82, s66                                      // 00000000E5EC: BF0A4252
	s_cselect_b32 s20, s36, s60                                // 00000000E5F0: 85143C24
	v_readlane_b32 s82, v3, 29                                 // 00000000E5F4: D2890052 00013B03
	s_and_b32 s82, s82, 0xffffff                               // 00000000E5FC: 8652FF52 00FFFFFF
	s_cmp_lt_u32 s82, s66                                      // 00000000E604: BF0A4252
	s_cselect_b32 s21, s36, s60                                // 00000000E608: 85153C24
	s_mov_b64 exec, s[20:21]                                   // 00000000E60C: BEFE0114
	global_atomic_add_f32 v6, v120, s[8:9]                     // 00000000E610: DD348000 00087806
	s_mov_b64 exec, s[36:37]                                   // 00000000E618: BEFE0124
	v_mov_b32_e32 v6, v85                                      // 00000000E61C: 7E0C0355
	s_mov_b64 s[60:61], 0                                      // 00000000E620: BEBC0180
	v_readlane_b32 s82, v3, 30                                 // 00000000E624: D2890052 00013D03
	s_and_b32 s82, s82, 0xffffff                               // 00000000E62C: 8652FF52 00FFFFFF
	s_cmp_lt_u32 s82, s66                                      // 00000000E634: BF0A4252
	s_cselect_b32 s20, s36, s60                                // 00000000E638: 85143C24
	v_readlane_b32 s82, v3, 31                                 // 00000000E63C: D2890052 00013F03
	s_and_b32 s82, s82, 0xffffff                               // 00000000E644: 8652FF52 00FFFFFF
	s_cmp_lt_u32 s82, s66                                      // 00000000E64C: BF0A4252
	s_cselect_b32 s21, s36, s60                                // 00000000E650: 85153C24
	s_mov_b64 exec, s[20:21]                                   // 00000000E654: BEFE0114
	global_atomic_add_f32 v6, v121, s[8:9]                     // 00000000E658: DD348000 00087906
	s_mov_b64 exec, s[36:37]                                   // 00000000E660: BEFE0124
	v_mov_b32_e32 v6, v86                                      // 00000000E664: 7E0C0356
	s_mov_b64 s[60:61], 0                                      // 00000000E668: BEBC0180
	v_readlane_b32 s82, v3, 32                                 // 00000000E66C: D2890052 00014103
	s_and_b32 s82, s82, 0xffffff                               // 00000000E674: 8652FF52 00FFFFFF
	s_cmp_lt_u32 s82, s66                                      // 00000000E67C: BF0A4252
	s_cselect_b32 s20, s36, s60                                // 00000000E680: 85143C24
	v_readlane_b32 s82, v3, 33                                 // 00000000E684: D2890052 00014303
	s_and_b32 s82, s82, 0xffffff                               // 00000000E68C: 8652FF52 00FFFFFF
	s_cmp_lt_u32 s82, s66                                      // 00000000E694: BF0A4252
	s_cselect_b32 s21, s36, s60                                // 00000000E698: 85153C24
	s_mov_b64 exec, s[20:21]                                   // 00000000E69C: BEFE0114
	global_atomic_add_f32 v6, v124, s[8:9]                     // 00000000E6A0: DD348000 00087C06
	s_mov_b64 exec, s[36:37]                                   // 00000000E6A8: BEFE0124
	v_mov_b32_e32 v6, v87                                      // 00000000E6AC: 7E0C0357
	s_mov_b64 s[60:61], 0                                      // 00000000E6B0: BEBC0180
	v_readlane_b32 s82, v3, 34                                 // 00000000E6B4: D2890052 00014503
	s_and_b32 s82, s82, 0xffffff                               // 00000000E6BC: 8652FF52 00FFFFFF
	s_cmp_lt_u32 s82, s66                                      // 00000000E6C4: BF0A4252
	s_cselect_b32 s20, s36, s60                                // 00000000E6C8: 85143C24
	v_readlane_b32 s82, v3, 35                                 // 00000000E6CC: D2890052 00014703
	s_and_b32 s82, s82, 0xffffff                               // 00000000E6D4: 8652FF52 00FFFFFF
	s_cmp_lt_u32 s82, s66                                      // 00000000E6DC: BF0A4252
	s_cselect_b32 s21, s36, s60                                // 00000000E6E0: 85153C24
	s_mov_b64 exec, s[20:21]                                   // 00000000E6E4: BEFE0114
	global_atomic_add_f32 v6, v125, s[8:9]                     // 00000000E6E8: DD348000 00087D06
	s_mov_b64 exec, s[36:37]                                   // 00000000E6F0: BEFE0124
	v_mov_b32_e32 v6, v88                                      // 00000000E6F4: 7E0C0358
	s_mov_b64 s[60:61], 0                                      // 00000000E6F8: BEBC0180
	v_readlane_b32 s82, v3, 36                                 // 00000000E6FC: D2890052 00014903
	s_and_b32 s82, s82, 0xffffff                               // 00000000E704: 8652FF52 00FFFFFF
	s_cmp_lt_u32 s82, s66                                      // 00000000E70C: BF0A4252
	s_cselect_b32 s20, s36, s60                                // 00000000E710: 85143C24
	v_readlane_b32 s82, v3, 37                                 // 00000000E714: D2890052 00014B03
	s_and_b32 s82, s82, 0xffffff                               // 00000000E71C: 8652FF52 00FFFFFF
	s_cmp_lt_u32 s82, s66                                      // 00000000E724: BF0A4252
	s_cselect_b32 s21, s36, s60                                // 00000000E728: 85153C24
	s_mov_b64 exec, s[20:21]                                   // 00000000E72C: BEFE0114
	global_atomic_add_f32 v6, v128, s[8:9]                     // 00000000E730: DD348000 00088006
	s_mov_b64 exec, s[36:37]                                   // 00000000E738: BEFE0124
	v_mov_b32_e32 v6, v89                                      // 00000000E73C: 7E0C0359
	s_mov_b64 s[60:61], 0                                      // 00000000E740: BEBC0180
	v_readlane_b32 s82, v3, 38                                 // 00000000E744: D2890052 00014D03
	s_and_b32 s82, s82, 0xffffff                               // 00000000E74C: 8652FF52 00FFFFFF
	s_cmp_lt_u32 s82, s66                                      // 00000000E754: BF0A4252
	s_cselect_b32 s20, s36, s60                                // 00000000E758: 85143C24
	v_readlane_b32 s82, v3, 39                                 // 00000000E75C: D2890052 00014F03
	s_and_b32 s82, s82, 0xffffff                               // 00000000E764: 8652FF52 00FFFFFF
	s_cmp_lt_u32 s82, s66                                      // 00000000E76C: BF0A4252
	s_cselect_b32 s21, s36, s60                                // 00000000E770: 85153C24
	s_mov_b64 exec, s[20:21]                                   // 00000000E774: BEFE0114
	global_atomic_add_f32 v6, v129, s[8:9]                     // 00000000E778: DD348000 00088106
	s_mov_b64 exec, s[36:37]                                   // 00000000E780: BEFE0124
	ds_write_b64 v20, v[94:95]                                 // 00000000E784: D89A0000 00005E14
	ds_write_b64 v20, v[98:99] offset:2176                     // 00000000E78C: D89A0880 00006214
	ds_write_b64 v20, v[102:103] offset:4352                   // 00000000E794: D89A1100 00006614
	ds_write_b64 v20, v[106:107] offset:6528                   // 00000000E79C: D89A1980 00006A14
	ds_write_b64 v20, v[110:111] offset:8704                   // 00000000E7A4: D89A2200 00006E14
	ds_write_b64 v20, v[114:115] offset:10880                  // 00000000E7AC: D89A2A80 00007214
	ds_write_b64 v20, v[118:119] offset:13056                  // 00000000E7B4: D89A3300 00007614
	ds_write_b64 v20, v[122:123] offset:15232                  // 00000000E7BC: D89A3B80 00007A14
	ds_write_b64 v20, v[126:127] offset:17408                  // 00000000E7C4: D89A4400 00007E14
	ds_write_b64 v20, v[130:131] offset:19584                  // 00000000E7CC: D89A4C80 00008214
	s_waitcnt lgkmcnt(0)                                       // 00000000E7D4: BF8CC07F
	s_barrier                                                  // 00000000E7D8: BF8A0000
	ds_read_b32 v94, v21                                       // 00000000E7DC: D86C0000 5E000015
	ds_read_b32 v95, v21 offset:64                             // 00000000E7E4: D86C0040 5F000015
	ds_read_b32 v98, v21 offset:2176                           // 00000000E7EC: D86C0880 62000015
	ds_read_b32 v99, v21 offset:2240                           // 00000000E7F4: D86C08C0 63000015
	ds_read_b32 v102, v21 offset:4352                          // 00000000E7FC: D86C1100 66000015
	ds_read_b32 v103, v21 offset:4416                          // 00000000E804: D86C1140 67000015
	ds_read_b32 v106, v21 offset:6528                          // 00000000E80C: D86C1980 6A000015
	ds_read_b32 v107, v21 offset:6592                          // 00000000E814: D86C19C0 6B000015
	ds_read_b32 v110, v21 offset:8704                          // 00000000E81C: D86C2200 6E000015
	ds_read_b32 v111, v21 offset:8768                          // 00000000E824: D86C2240 6F000015
	ds_read_b32 v114, v21 offset:10880                         // 00000000E82C: D86C2A80 72000015
	ds_read_b32 v115, v21 offset:10944                         // 00000000E834: D86C2AC0 73000015
	ds_read_b32 v118, v21 offset:13056                         // 00000000E83C: D86C3300 76000015
	ds_read_b32 v119, v21 offset:13120                         // 00000000E844: D86C3340 77000015
	ds_read_b32 v122, v21 offset:15232                         // 00000000E84C: D86C3B80 7A000015
	ds_read_b32 v123, v21 offset:15296                         // 00000000E854: D86C3BC0 7B000015
	ds_read_b32 v126, v21 offset:17408                         // 00000000E85C: D86C4400 7E000015
	ds_read_b32 v127, v21 offset:17472                         // 00000000E864: D86C4440 7F000015
	ds_read_b32 v130, v21 offset:19584                         // 00000000E86C: D86C4C80 82000015
	ds_read_b32 v131, v21 offset:19648                         // 00000000E874: D86C4CC0 83000015
	s_waitcnt lgkmcnt(0)                                       // 00000000E87C: BF8CC07F
	v_mov_b32_e32 v7, 0                                        // 00000000E880: 7E0E0280
	s_mov_b64 exec, s[36:37]                                   // 00000000E884: BEFE0124
	v_mov_b32_e32 v6, v70                                      // 00000000E888: 7E0C0346
	s_mov_b64 s[60:61], 0                                      // 00000000E88C: BEBC0180
	v_readlane_b32 s82, v3, 0                                  // 00000000E890: D2890052 00010103
	s_and_b32 s82, s82, 0xffffff                               // 00000000E898: 8652FF52 00FFFFFF
	s_cmp_lt_u32 s82, s66                                      // 00000000E8A0: BF0A4252
	s_cselect_b32 s20, s36, s60                                // 00000000E8A4: 85143C24
	v_readlane_b32 s82, v3, 1                                  // 00000000E8A8: D2890052 00010303
	s_and_b32 s82, s82, 0xffffff                               // 00000000E8B0: 8652FF52 00FFFFFF
	s_cmp_lt_u32 s82, s66                                      // 00000000E8B8: BF0A4252
	s_cselect_b32 s21, s36, s60                                // 00000000E8BC: 85153C24
	s_mov_b64 exec, s[20:21]                                   // 00000000E8C0: BEFE0114
	global_atomic_add_f32 v6, v94, s[8:9] offset:8             // 00000000E8C4: DD348008 00085E06
	s_mov_b64 exec, s[36:37]                                   // 00000000E8CC: BEFE0124
	v_mov_b32_e32 v6, v71                                      // 00000000E8D0: 7E0C0347
	s_mov_b64 s[60:61], 0                                      // 00000000E8D4: BEBC0180
	v_readlane_b32 s82, v3, 2                                  // 00000000E8D8: D2890052 00010503
	s_and_b32 s82, s82, 0xffffff                               // 00000000E8E0: 8652FF52 00FFFFFF
	s_cmp_lt_u32 s82, s66                                      // 00000000E8E8: BF0A4252
	s_cselect_b32 s20, s36, s60                                // 00000000E8EC: 85143C24
	v_readlane_b32 s82, v3, 3                                  // 00000000E8F0: D2890052 00010703
	s_and_b32 s82, s82, 0xffffff                               // 00000000E8F8: 8652FF52 00FFFFFF
	s_cmp_lt_u32 s82, s66                                      // 00000000E900: BF0A4252
	s_cselect_b32 s21, s36, s60                                // 00000000E904: 85153C24
	s_mov_b64 exec, s[20:21]                                   // 00000000E908: BEFE0114
	global_atomic_add_f32 v6, v95, s[8:9] offset:8             // 00000000E90C: DD348008 00085F06
	s_mov_b64 exec, s[36:37]                                   // 00000000E914: BEFE0124
	v_mov_b32_e32 v6, v72                                      // 00000000E918: 7E0C0348
	s_mov_b64 s[60:61], 0                                      // 00000000E91C: BEBC0180
	v_readlane_b32 s82, v3, 4                                  // 00000000E920: D2890052 00010903
	s_and_b32 s82, s82, 0xffffff                               // 00000000E928: 8652FF52 00FFFFFF
	s_cmp_lt_u32 s82, s66                                      // 00000000E930: BF0A4252
	s_cselect_b32 s20, s36, s60                                // 00000000E934: 85143C24
	v_readlane_b32 s82, v3, 5                                  // 00000000E938: D2890052 00010B03
	s_and_b32 s82, s82, 0xffffff                               // 00000000E940: 8652FF52 00FFFFFF
	s_cmp_lt_u32 s82, s66                                      // 00000000E948: BF0A4252
	s_cselect_b32 s21, s36, s60                                // 00000000E94C: 85153C24
	s_mov_b64 exec, s[20:21]                                   // 00000000E950: BEFE0114
	global_atomic_add_f32 v6, v98, s[8:9] offset:8             // 00000000E954: DD348008 00086206
	s_mov_b64 exec, s[36:37]                                   // 00000000E95C: BEFE0124
	v_mov_b32_e32 v6, v73                                      // 00000000E960: 7E0C0349
	s_mov_b64 s[60:61], 0                                      // 00000000E964: BEBC0180
	v_readlane_b32 s82, v3, 6                                  // 00000000E968: D2890052 00010D03
	s_and_b32 s82, s82, 0xffffff                               // 00000000E970: 8652FF52 00FFFFFF
	s_cmp_lt_u32 s82, s66                                      // 00000000E978: BF0A4252
	s_cselect_b32 s20, s36, s60                                // 00000000E97C: 85143C24
	v_readlane_b32 s82, v3, 7                                  // 00000000E980: D2890052 00010F03
	s_and_b32 s82, s82, 0xffffff                               // 00000000E988: 8652FF52 00FFFFFF
	s_cmp_lt_u32 s82, s66                                      // 00000000E990: BF0A4252
	s_cselect_b32 s21, s36, s60                                // 00000000E994: 85153C24
	s_mov_b64 exec, s[20:21]                                   // 00000000E998: BEFE0114
	global_atomic_add_f32 v6, v99, s[8:9] offset:8             // 00000000E99C: DD348008 00086306
	s_mov_b64 exec, s[36:37]                                   // 00000000E9A4: BEFE0124
	v_mov_b32_e32 v6, v74                                      // 00000000E9A8: 7E0C034A
	s_mov_b64 s[60:61], 0                                      // 00000000E9AC: BEBC0180
	v_readlane_b32 s82, v3, 8                                  // 00000000E9B0: D2890052 00011103
	s_and_b32 s82, s82, 0xffffff                               // 00000000E9B8: 8652FF52 00FFFFFF
	s_cmp_lt_u32 s82, s66                                      // 00000000E9C0: BF0A4252
	s_cselect_b32 s20, s36, s60                                // 00000000E9C4: 85143C24
	v_readlane_b32 s82, v3, 9                                  // 00000000E9C8: D2890052 00011303
	s_and_b32 s82, s82, 0xffffff                               // 00000000E9D0: 8652FF52 00FFFFFF
	s_cmp_lt_u32 s82, s66                                      // 00000000E9D8: BF0A4252
	s_cselect_b32 s21, s36, s60                                // 00000000E9DC: 85153C24
	s_mov_b64 exec, s[20:21]                                   // 00000000E9E0: BEFE0114
	global_atomic_add_f32 v6, v102, s[8:9] offset:8            // 00000000E9E4: DD348008 00086606
	s_mov_b64 exec, s[36:37]                                   // 00000000E9EC: BEFE0124
	v_mov_b32_e32 v6, v75                                      // 00000000E9F0: 7E0C034B
	s_mov_b64 s[60:61], 0                                      // 00000000E9F4: BEBC0180
	v_readlane_b32 s82, v3, 10                                 // 00000000E9F8: D2890052 00011503
	s_and_b32 s82, s82, 0xffffff                               // 00000000EA00: 8652FF52 00FFFFFF
	s_cmp_lt_u32 s82, s66                                      // 00000000EA08: BF0A4252
	s_cselect_b32 s20, s36, s60                                // 00000000EA0C: 85143C24
	v_readlane_b32 s82, v3, 11                                 // 00000000EA10: D2890052 00011703
	s_and_b32 s82, s82, 0xffffff                               // 00000000EA18: 8652FF52 00FFFFFF
	s_cmp_lt_u32 s82, s66                                      // 00000000EA20: BF0A4252
	s_cselect_b32 s21, s36, s60                                // 00000000EA24: 85153C24
	s_mov_b64 exec, s[20:21]                                   // 00000000EA28: BEFE0114
	global_atomic_add_f32 v6, v103, s[8:9] offset:8            // 00000000EA2C: DD348008 00086706
	s_mov_b64 exec, s[36:37]                                   // 00000000EA34: BEFE0124
	v_mov_b32_e32 v6, v76                                      // 00000000EA38: 7E0C034C
	s_mov_b64 s[60:61], 0                                      // 00000000EA3C: BEBC0180
	v_readlane_b32 s82, v3, 12                                 // 00000000EA40: D2890052 00011903
	s_and_b32 s82, s82, 0xffffff                               // 00000000EA48: 8652FF52 00FFFFFF
	s_cmp_lt_u32 s82, s66                                      // 00000000EA50: BF0A4252
	s_cselect_b32 s20, s36, s60                                // 00000000EA54: 85143C24
	v_readlane_b32 s82, v3, 13                                 // 00000000EA58: D2890052 00011B03
	s_and_b32 s82, s82, 0xffffff                               // 00000000EA60: 8652FF52 00FFFFFF
	s_cmp_lt_u32 s82, s66                                      // 00000000EA68: BF0A4252
	s_cselect_b32 s21, s36, s60                                // 00000000EA6C: 85153C24
	s_mov_b64 exec, s[20:21]                                   // 00000000EA70: BEFE0114
	global_atomic_add_f32 v6, v106, s[8:9] offset:8            // 00000000EA74: DD348008 00086A06
	s_mov_b64 exec, s[36:37]                                   // 00000000EA7C: BEFE0124
	v_mov_b32_e32 v6, v77                                      // 00000000EA80: 7E0C034D
	s_mov_b64 s[60:61], 0                                      // 00000000EA84: BEBC0180
	v_readlane_b32 s82, v3, 14                                 // 00000000EA88: D2890052 00011D03
	s_and_b32 s82, s82, 0xffffff                               // 00000000EA90: 8652FF52 00FFFFFF
	s_cmp_lt_u32 s82, s66                                      // 00000000EA98: BF0A4252
	s_cselect_b32 s20, s36, s60                                // 00000000EA9C: 85143C24
	v_readlane_b32 s82, v3, 15                                 // 00000000EAA0: D2890052 00011F03
	s_and_b32 s82, s82, 0xffffff                               // 00000000EAA8: 8652FF52 00FFFFFF
	s_cmp_lt_u32 s82, s66                                      // 00000000EAB0: BF0A4252
	s_cselect_b32 s21, s36, s60                                // 00000000EAB4: 85153C24
	s_mov_b64 exec, s[20:21]                                   // 00000000EAB8: BEFE0114
	global_atomic_add_f32 v6, v107, s[8:9] offset:8            // 00000000EABC: DD348008 00086B06
	s_mov_b64 exec, s[36:37]                                   // 00000000EAC4: BEFE0124
	v_mov_b32_e32 v6, v78                                      // 00000000EAC8: 7E0C034E
	s_mov_b64 s[60:61], 0                                      // 00000000EACC: BEBC0180
	v_readlane_b32 s82, v3, 16                                 // 00000000EAD0: D2890052 00012103
	s_and_b32 s82, s82, 0xffffff                               // 00000000EAD8: 8652FF52 00FFFFFF
	s_cmp_lt_u32 s82, s66                                      // 00000000EAE0: BF0A4252
	s_cselect_b32 s20, s36, s60                                // 00000000EAE4: 85143C24
	v_readlane_b32 s82, v3, 17                                 // 00000000EAE8: D2890052 00012303
	s_and_b32 s82, s82, 0xffffff                               // 00000000EAF0: 8652FF52 00FFFFFF
	s_cmp_lt_u32 s82, s66                                      // 00000000EAF8: BF0A4252
	s_cselect_b32 s21, s36, s60                                // 00000000EAFC: 85153C24
	s_mov_b64 exec, s[20:21]                                   // 00000000EB00: BEFE0114
	global_atomic_add_f32 v6, v110, s[8:9] offset:8            // 00000000EB04: DD348008 00086E06
	s_mov_b64 exec, s[36:37]                                   // 00000000EB0C: BEFE0124
	v_mov_b32_e32 v6, v79                                      // 00000000EB10: 7E0C034F
	s_mov_b64 s[60:61], 0                                      // 00000000EB14: BEBC0180
	v_readlane_b32 s82, v3, 18                                 // 00000000EB18: D2890052 00012503
	s_and_b32 s82, s82, 0xffffff                               // 00000000EB20: 8652FF52 00FFFFFF
	s_cmp_lt_u32 s82, s66                                      // 00000000EB28: BF0A4252
	s_cselect_b32 s20, s36, s60                                // 00000000EB2C: 85143C24
	v_readlane_b32 s82, v3, 19                                 // 00000000EB30: D2890052 00012703
	s_and_b32 s82, s82, 0xffffff                               // 00000000EB38: 8652FF52 00FFFFFF
	s_cmp_lt_u32 s82, s66                                      // 00000000EB40: BF0A4252
	s_cselect_b32 s21, s36, s60                                // 00000000EB44: 85153C24
	s_mov_b64 exec, s[20:21]                                   // 00000000EB48: BEFE0114
	global_atomic_add_f32 v6, v111, s[8:9] offset:8            // 00000000EB4C: DD348008 00086F06
	s_mov_b64 exec, s[36:37]                                   // 00000000EB54: BEFE0124
	v_mov_b32_e32 v6, v80                                      // 00000000EB58: 7E0C0350
	s_mov_b64 s[60:61], 0                                      // 00000000EB5C: BEBC0180
	v_readlane_b32 s82, v3, 20                                 // 00000000EB60: D2890052 00012903
	s_and_b32 s82, s82, 0xffffff                               // 00000000EB68: 8652FF52 00FFFFFF
	s_cmp_lt_u32 s82, s66                                      // 00000000EB70: BF0A4252
	s_cselect_b32 s20, s36, s60                                // 00000000EB74: 85143C24
	v_readlane_b32 s82, v3, 21                                 // 00000000EB78: D2890052 00012B03
	s_and_b32 s82, s82, 0xffffff                               // 00000000EB80: 8652FF52 00FFFFFF
	s_cmp_lt_u32 s82, s66                                      // 00000000EB88: BF0A4252
	s_cselect_b32 s21, s36, s60                                // 00000000EB8C: 85153C24
	s_mov_b64 exec, s[20:21]                                   // 00000000EB90: BEFE0114
	global_atomic_add_f32 v6, v114, s[8:9] offset:8            // 00000000EB94: DD348008 00087206
	s_mov_b64 exec, s[36:37]                                   // 00000000EB9C: BEFE0124
	v_mov_b32_e32 v6, v81                                      // 00000000EBA0: 7E0C0351
	s_mov_b64 s[60:61], 0                                      // 00000000EBA4: BEBC0180
	v_readlane_b32 s82, v3, 22                                 // 00000000EBA8: D2890052 00012D03
	s_and_b32 s82, s82, 0xffffff                               // 00000000EBB0: 8652FF52 00FFFFFF
	s_cmp_lt_u32 s82, s66                                      // 00000000EBB8: BF0A4252
	s_cselect_b32 s20, s36, s60                                // 00000000EBBC: 85143C24
	v_readlane_b32 s82, v3, 23                                 // 00000000EBC0: D2890052 00012F03
	s_and_b32 s82, s82, 0xffffff                               // 00000000EBC8: 8652FF52 00FFFFFF
	s_cmp_lt_u32 s82, s66                                      // 00000000EBD0: BF0A4252
	s_cselect_b32 s21, s36, s60                                // 00000000EBD4: 85153C24
	s_mov_b64 exec, s[20:21]                                   // 00000000EBD8: BEFE0114
	global_atomic_add_f32 v6, v115, s[8:9] offset:8            // 00000000EBDC: DD348008 00087306
	s_mov_b64 exec, s[36:37]                                   // 00000000EBE4: BEFE0124
	v_mov_b32_e32 v6, v82                                      // 00000000EBE8: 7E0C0352
	s_mov_b64 s[60:61], 0                                      // 00000000EBEC: BEBC0180
	v_readlane_b32 s82, v3, 24                                 // 00000000EBF0: D2890052 00013103
	s_and_b32 s82, s82, 0xffffff                               // 00000000EBF8: 8652FF52 00FFFFFF
	s_cmp_lt_u32 s82, s66                                      // 00000000EC00: BF0A4252
	s_cselect_b32 s20, s36, s60                                // 00000000EC04: 85143C24
	v_readlane_b32 s82, v3, 25                                 // 00000000EC08: D2890052 00013303
	s_and_b32 s82, s82, 0xffffff                               // 00000000EC10: 8652FF52 00FFFFFF
	s_cmp_lt_u32 s82, s66                                      // 00000000EC18: BF0A4252
	s_cselect_b32 s21, s36, s60                                // 00000000EC1C: 85153C24
	s_mov_b64 exec, s[20:21]                                   // 00000000EC20: BEFE0114
	global_atomic_add_f32 v6, v118, s[8:9] offset:8            // 00000000EC24: DD348008 00087606
	s_mov_b64 exec, s[36:37]                                   // 00000000EC2C: BEFE0124
	v_mov_b32_e32 v6, v83                                      // 00000000EC30: 7E0C0353
	s_mov_b64 s[60:61], 0                                      // 00000000EC34: BEBC0180
	v_readlane_b32 s82, v3, 26                                 // 00000000EC38: D2890052 00013503
	s_and_b32 s82, s82, 0xffffff                               // 00000000EC40: 8652FF52 00FFFFFF
	s_cmp_lt_u32 s82, s66                                      // 00000000EC48: BF0A4252
	s_cselect_b32 s20, s36, s60                                // 00000000EC4C: 85143C24
	v_readlane_b32 s82, v3, 27                                 // 00000000EC50: D2890052 00013703
	s_and_b32 s82, s82, 0xffffff                               // 00000000EC58: 8652FF52 00FFFFFF
	s_cmp_lt_u32 s82, s66                                      // 00000000EC60: BF0A4252
	s_cselect_b32 s21, s36, s60                                // 00000000EC64: 85153C24
	s_mov_b64 exec, s[20:21]                                   // 00000000EC68: BEFE0114
	global_atomic_add_f32 v6, v119, s[8:9] offset:8            // 00000000EC6C: DD348008 00087706
	s_mov_b64 exec, s[36:37]                                   // 00000000EC74: BEFE0124
	v_mov_b32_e32 v6, v84                                      // 00000000EC78: 7E0C0354
	s_mov_b64 s[60:61], 0                                      // 00000000EC7C: BEBC0180
	v_readlane_b32 s82, v3, 28                                 // 00000000EC80: D2890052 00013903
	s_and_b32 s82, s82, 0xffffff                               // 00000000EC88: 8652FF52 00FFFFFF
	s_cmp_lt_u32 s82, s66                                      // 00000000EC90: BF0A4252
	s_cselect_b32 s20, s36, s60                                // 00000000EC94: 85143C24
	v_readlane_b32 s82, v3, 29                                 // 00000000EC98: D2890052 00013B03
	s_and_b32 s82, s82, 0xffffff                               // 00000000ECA0: 8652FF52 00FFFFFF
	s_cmp_lt_u32 s82, s66                                      // 00000000ECA8: BF0A4252
	s_cselect_b32 s21, s36, s60                                // 00000000ECAC: 85153C24
	s_mov_b64 exec, s[20:21]                                   // 00000000ECB0: BEFE0114
	global_atomic_add_f32 v6, v122, s[8:9] offset:8            // 00000000ECB4: DD348008 00087A06
	s_mov_b64 exec, s[36:37]                                   // 00000000ECBC: BEFE0124
	v_mov_b32_e32 v6, v85                                      // 00000000ECC0: 7E0C0355
	s_mov_b64 s[60:61], 0                                      // 00000000ECC4: BEBC0180
	v_readlane_b32 s82, v3, 30                                 // 00000000ECC8: D2890052 00013D03
	s_and_b32 s82, s82, 0xffffff                               // 00000000ECD0: 8652FF52 00FFFFFF
	s_cmp_lt_u32 s82, s66                                      // 00000000ECD8: BF0A4252
	s_cselect_b32 s20, s36, s60                                // 00000000ECDC: 85143C24
	v_readlane_b32 s82, v3, 31                                 // 00000000ECE0: D2890052 00013F03
	s_and_b32 s82, s82, 0xffffff                               // 00000000ECE8: 8652FF52 00FFFFFF
	s_cmp_lt_u32 s82, s66                                      // 00000000ECF0: BF0A4252
	s_cselect_b32 s21, s36, s60                                // 00000000ECF4: 85153C24
	s_mov_b64 exec, s[20:21]                                   // 00000000ECF8: BEFE0114
	global_atomic_add_f32 v6, v123, s[8:9] offset:8            // 00000000ECFC: DD348008 00087B06
	s_mov_b64 exec, s[36:37]                                   // 00000000ED04: BEFE0124
	v_mov_b32_e32 v6, v86                                      // 00000000ED08: 7E0C0356
	s_mov_b64 s[60:61], 0                                      // 00000000ED0C: BEBC0180
	v_readlane_b32 s82, v3, 32                                 // 00000000ED10: D2890052 00014103
	s_and_b32 s82, s82, 0xffffff                               // 00000000ED18: 8652FF52 00FFFFFF
	s_cmp_lt_u32 s82, s66                                      // 00000000ED20: BF0A4252
	s_cselect_b32 s20, s36, s60                                // 00000000ED24: 85143C24
	v_readlane_b32 s82, v3, 33                                 // 00000000ED28: D2890052 00014303
	s_and_b32 s82, s82, 0xffffff                               // 00000000ED30: 8652FF52 00FFFFFF
	s_cmp_lt_u32 s82, s66                                      // 00000000ED38: BF0A4252
	s_cselect_b32 s21, s36, s60                                // 00000000ED3C: 85153C24
	s_mov_b64 exec, s[20:21]                                   // 00000000ED40: BEFE0114
	global_atomic_add_f32 v6, v126, s[8:9] offset:8            // 00000000ED44: DD348008 00087E06
	s_mov_b64 exec, s[36:37]                                   // 00000000ED4C: BEFE0124
	v_mov_b32_e32 v6, v87                                      // 00000000ED50: 7E0C0357
	s_mov_b64 s[60:61], 0                                      // 00000000ED54: BEBC0180
	v_readlane_b32 s82, v3, 34                                 // 00000000ED58: D2890052 00014503
	s_and_b32 s82, s82, 0xffffff                               // 00000000ED60: 8652FF52 00FFFFFF
	s_cmp_lt_u32 s82, s66                                      // 00000000ED68: BF0A4252
	s_cselect_b32 s20, s36, s60                                // 00000000ED6C: 85143C24
	v_readlane_b32 s82, v3, 35                                 // 00000000ED70: D2890052 00014703
	s_and_b32 s82, s82, 0xffffff                               // 00000000ED78: 8652FF52 00FFFFFF
	s_cmp_lt_u32 s82, s66                                      // 00000000ED80: BF0A4252
	s_cselect_b32 s21, s36, s60                                // 00000000ED84: 85153C24
	s_mov_b64 exec, s[20:21]                                   // 00000000ED88: BEFE0114
	global_atomic_add_f32 v6, v127, s[8:9] offset:8            // 00000000ED8C: DD348008 00087F06
	s_mov_b64 exec, s[36:37]                                   // 00000000ED94: BEFE0124
	v_mov_b32_e32 v6, v88                                      // 00000000ED98: 7E0C0358
	s_mov_b64 s[60:61], 0                                      // 00000000ED9C: BEBC0180
	v_readlane_b32 s82, v3, 36                                 // 00000000EDA0: D2890052 00014903
	s_and_b32 s82, s82, 0xffffff                               // 00000000EDA8: 8652FF52 00FFFFFF
	s_cmp_lt_u32 s82, s66                                      // 00000000EDB0: BF0A4252
	s_cselect_b32 s20, s36, s60                                // 00000000EDB4: 85143C24
	v_readlane_b32 s82, v3, 37                                 // 00000000EDB8: D2890052 00014B03
	s_and_b32 s82, s82, 0xffffff                               // 00000000EDC0: 8652FF52 00FFFFFF
	s_cmp_lt_u32 s82, s66                                      // 00000000EDC8: BF0A4252
	s_cselect_b32 s21, s36, s60                                // 00000000EDCC: 85153C24
	s_mov_b64 exec, s[20:21]                                   // 00000000EDD0: BEFE0114
	global_atomic_add_f32 v6, v130, s[8:9] offset:8            // 00000000EDD4: DD348008 00088206
	s_mov_b64 exec, s[36:37]                                   // 00000000EDDC: BEFE0124
	v_mov_b32_e32 v6, v89                                      // 00000000EDE0: 7E0C0359
	s_mov_b64 s[60:61], 0                                      // 00000000EDE4: BEBC0180
	v_readlane_b32 s82, v3, 38                                 // 00000000EDE8: D2890052 00014D03
	s_and_b32 s82, s82, 0xffffff                               // 00000000EDF0: 8652FF52 00FFFFFF
	s_cmp_lt_u32 s82, s66                                      // 00000000EDF8: BF0A4252
	s_cselect_b32 s20, s36, s60                                // 00000000EDFC: 85143C24
	v_readlane_b32 s82, v3, 39                                 // 00000000EE00: D2890052 00014F03
	s_and_b32 s82, s82, 0xffffff                               // 00000000EE08: 8652FF52 00FFFFFF
	s_cmp_lt_u32 s82, s66                                      // 00000000EE10: BF0A4252
	s_cselect_b32 s21, s36, s60                                // 00000000EE14: 85153C24
	s_mov_b64 exec, s[20:21]                                   // 00000000EE18: BEFE0114
	global_atomic_add_f32 v6, v131, s[8:9] offset:8            // 00000000EE1C: DD348008 00088306
	s_mov_b64 exec, s[36:37]                                   // 00000000EE24: BEFE0124
	ds_write_b64 v20, v[132:133]                               // 00000000EE28: D89A0000 00008414
	ds_write_b64 v20, v[136:137] offset:2176                   // 00000000EE30: D89A0880 00008814
	ds_write_b64 v20, v[140:141] offset:4352                   // 00000000EE38: D89A1100 00008C14
	ds_write_b64 v20, v[144:145] offset:6528                   // 00000000EE40: D89A1980 00009014
	ds_write_b64 v20, v[148:149] offset:8704                   // 00000000EE48: D89A2200 00009414
	ds_write_b64 v20, v[152:153] offset:10880                  // 00000000EE50: D89A2A80 00009814
	ds_write_b64 v20, v[156:157] offset:13056                  // 00000000EE58: D89A3300 00009C14
	ds_write_b64 v20, v[160:161] offset:15232                  // 00000000EE60: D89A3B80 0000A014
	ds_write_b64 v20, v[164:165] offset:17408                  // 00000000EE68: D89A4400 0000A414
	ds_write_b64 v20, v[168:169] offset:19584                  // 00000000EE70: D89A4C80 0000A814
	s_waitcnt lgkmcnt(0)                                       // 00000000EE78: BF8CC07F
	s_barrier                                                  // 00000000EE7C: BF8A0000
	ds_read_b32 v132, v21                                      // 00000000EE80: D86C0000 84000015
	ds_read_b32 v133, v21 offset:64                            // 00000000EE88: D86C0040 85000015
	ds_read_b32 v136, v21 offset:2176                          // 00000000EE90: D86C0880 88000015
	ds_read_b32 v137, v21 offset:2240                          // 00000000EE98: D86C08C0 89000015
	ds_read_b32 v140, v21 offset:4352                          // 00000000EEA0: D86C1100 8C000015
	ds_read_b32 v141, v21 offset:4416                          // 00000000EEA8: D86C1140 8D000015
	ds_read_b32 v144, v21 offset:6528                          // 00000000EEB0: D86C1980 90000015
	ds_read_b32 v145, v21 offset:6592                          // 00000000EEB8: D86C19C0 91000015
	ds_read_b32 v148, v21 offset:8704                          // 00000000EEC0: D86C2200 94000015
	ds_read_b32 v149, v21 offset:8768                          // 00000000EEC8: D86C2240 95000015
	ds_read_b32 v152, v21 offset:10880                         // 00000000EED0: D86C2A80 98000015
	ds_read_b32 v153, v21 offset:10944                         // 00000000EED8: D86C2AC0 99000015
	ds_read_b32 v156, v21 offset:13056                         // 00000000EEE0: D86C3300 9C000015
	ds_read_b32 v157, v21 offset:13120                         // 00000000EEE8: D86C3340 9D000015
	ds_read_b32 v160, v21 offset:15232                         // 00000000EEF0: D86C3B80 A0000015
	ds_read_b32 v161, v21 offset:15296                         // 00000000EEF8: D86C3BC0 A1000015
	ds_read_b32 v164, v21 offset:17408                         // 00000000EF00: D86C4400 A4000015
	ds_read_b32 v165, v21 offset:17472                         // 00000000EF08: D86C4440 A5000015
	ds_read_b32 v168, v21 offset:19584                         // 00000000EF10: D86C4C80 A8000015
	ds_read_b32 v169, v21 offset:19648                         // 00000000EF18: D86C4CC0 A9000015
	s_mul_i32 s60, s65, 4                                      // 00000000EF20: 923C8441
	s_add_u32 s8, s60, s8                                      // 00000000EF24: 8008083C
	s_addc_u32 s9, 0, s9                                       // 00000000EF28: 82090980
	s_waitcnt lgkmcnt(0)                                       // 00000000EF2C: BF8CC07F
	v_mov_b32_e32 v7, 0                                        // 00000000EF30: 7E0E0280
	s_mov_b64 exec, s[36:37]                                   // 00000000EF34: BEFE0124
	v_mov_b32_e32 v6, v70                                      // 00000000EF38: 7E0C0346
	s_mov_b64 s[60:61], 0                                      // 00000000EF3C: BEBC0180
	v_readlane_b32 s82, v3, 0                                  // 00000000EF40: D2890052 00010103
	s_and_b32 s82, s82, 0xffffff                               // 00000000EF48: 8652FF52 00FFFFFF
	s_cmp_lt_u32 s82, s66                                      // 00000000EF50: BF0A4252
	s_cselect_b32 s20, s36, s60                                // 00000000EF54: 85143C24
	v_readlane_b32 s82, v3, 1                                  // 00000000EF58: D2890052 00010303
	s_and_b32 s82, s82, 0xffffff                               // 00000000EF60: 8652FF52 00FFFFFF
	s_cmp_lt_u32 s82, s66                                      // 00000000EF68: BF0A4252
	s_cselect_b32 s21, s36, s60                                // 00000000EF6C: 85153C24
	s_mov_b64 exec, s[20:21]                                   // 00000000EF70: BEFE0114
	global_atomic_add_f32 v6, v132, s[8:9]                     // 00000000EF74: DD348000 00088406
	s_mov_b64 exec, s[36:37]                                   // 00000000EF7C: BEFE0124
	v_mov_b32_e32 v6, v71                                      // 00000000EF80: 7E0C0347
	s_mov_b64 s[60:61], 0                                      // 00000000EF84: BEBC0180
	v_readlane_b32 s82, v3, 2                                  // 00000000EF88: D2890052 00010503
	s_and_b32 s82, s82, 0xffffff                               // 00000000EF90: 8652FF52 00FFFFFF
	s_cmp_lt_u32 s82, s66                                      // 00000000EF98: BF0A4252
	s_cselect_b32 s20, s36, s60                                // 00000000EF9C: 85143C24
	v_readlane_b32 s82, v3, 3                                  // 00000000EFA0: D2890052 00010703
	s_and_b32 s82, s82, 0xffffff                               // 00000000EFA8: 8652FF52 00FFFFFF
	s_cmp_lt_u32 s82, s66                                      // 00000000EFB0: BF0A4252
	s_cselect_b32 s21, s36, s60                                // 00000000EFB4: 85153C24
	s_mov_b64 exec, s[20:21]                                   // 00000000EFB8: BEFE0114
	global_atomic_add_f32 v6, v133, s[8:9]                     // 00000000EFBC: DD348000 00088506
	s_mov_b64 exec, s[36:37]                                   // 00000000EFC4: BEFE0124
	v_mov_b32_e32 v6, v72                                      // 00000000EFC8: 7E0C0348
	s_mov_b64 s[60:61], 0                                      // 00000000EFCC: BEBC0180
	v_readlane_b32 s82, v3, 4                                  // 00000000EFD0: D2890052 00010903
	s_and_b32 s82, s82, 0xffffff                               // 00000000EFD8: 8652FF52 00FFFFFF
	s_cmp_lt_u32 s82, s66                                      // 00000000EFE0: BF0A4252
	s_cselect_b32 s20, s36, s60                                // 00000000EFE4: 85143C24
	v_readlane_b32 s82, v3, 5                                  // 00000000EFE8: D2890052 00010B03
	s_and_b32 s82, s82, 0xffffff                               // 00000000EFF0: 8652FF52 00FFFFFF
	s_cmp_lt_u32 s82, s66                                      // 00000000EFF8: BF0A4252
	s_cselect_b32 s21, s36, s60                                // 00000000EFFC: 85153C24
	s_mov_b64 exec, s[20:21]                                   // 00000000F000: BEFE0114
	global_atomic_add_f32 v6, v136, s[8:9]                     // 00000000F004: DD348000 00088806
	s_mov_b64 exec, s[36:37]                                   // 00000000F00C: BEFE0124
	v_mov_b32_e32 v6, v73                                      // 00000000F010: 7E0C0349
	s_mov_b64 s[60:61], 0                                      // 00000000F014: BEBC0180
	v_readlane_b32 s82, v3, 6                                  // 00000000F018: D2890052 00010D03
	s_and_b32 s82, s82, 0xffffff                               // 00000000F020: 8652FF52 00FFFFFF
	s_cmp_lt_u32 s82, s66                                      // 00000000F028: BF0A4252
	s_cselect_b32 s20, s36, s60                                // 00000000F02C: 85143C24
	v_readlane_b32 s82, v3, 7                                  // 00000000F030: D2890052 00010F03
	s_and_b32 s82, s82, 0xffffff                               // 00000000F038: 8652FF52 00FFFFFF
	s_cmp_lt_u32 s82, s66                                      // 00000000F040: BF0A4252
	s_cselect_b32 s21, s36, s60                                // 00000000F044: 85153C24
	s_mov_b64 exec, s[20:21]                                   // 00000000F048: BEFE0114
	global_atomic_add_f32 v6, v137, s[8:9]                     // 00000000F04C: DD348000 00088906
	s_mov_b64 exec, s[36:37]                                   // 00000000F054: BEFE0124
	v_mov_b32_e32 v6, v74                                      // 00000000F058: 7E0C034A
	s_mov_b64 s[60:61], 0                                      // 00000000F05C: BEBC0180
	v_readlane_b32 s82, v3, 8                                  // 00000000F060: D2890052 00011103
	s_and_b32 s82, s82, 0xffffff                               // 00000000F068: 8652FF52 00FFFFFF
	s_cmp_lt_u32 s82, s66                                      // 00000000F070: BF0A4252
	s_cselect_b32 s20, s36, s60                                // 00000000F074: 85143C24
	v_readlane_b32 s82, v3, 9                                  // 00000000F078: D2890052 00011303
	s_and_b32 s82, s82, 0xffffff                               // 00000000F080: 8652FF52 00FFFFFF
	s_cmp_lt_u32 s82, s66                                      // 00000000F088: BF0A4252
	s_cselect_b32 s21, s36, s60                                // 00000000F08C: 85153C24
	s_mov_b64 exec, s[20:21]                                   // 00000000F090: BEFE0114
	global_atomic_add_f32 v6, v140, s[8:9]                     // 00000000F094: DD348000 00088C06
	s_mov_b64 exec, s[36:37]                                   // 00000000F09C: BEFE0124
	v_mov_b32_e32 v6, v75                                      // 00000000F0A0: 7E0C034B
	s_mov_b64 s[60:61], 0                                      // 00000000F0A4: BEBC0180
	v_readlane_b32 s82, v3, 10                                 // 00000000F0A8: D2890052 00011503
	s_and_b32 s82, s82, 0xffffff                               // 00000000F0B0: 8652FF52 00FFFFFF
	s_cmp_lt_u32 s82, s66                                      // 00000000F0B8: BF0A4252
	s_cselect_b32 s20, s36, s60                                // 00000000F0BC: 85143C24
	v_readlane_b32 s82, v3, 11                                 // 00000000F0C0: D2890052 00011703
	s_and_b32 s82, s82, 0xffffff                               // 00000000F0C8: 8652FF52 00FFFFFF
	s_cmp_lt_u32 s82, s66                                      // 00000000F0D0: BF0A4252
	s_cselect_b32 s21, s36, s60                                // 00000000F0D4: 85153C24
	s_mov_b64 exec, s[20:21]                                   // 00000000F0D8: BEFE0114
	global_atomic_add_f32 v6, v141, s[8:9]                     // 00000000F0DC: DD348000 00088D06
	s_mov_b64 exec, s[36:37]                                   // 00000000F0E4: BEFE0124
	v_mov_b32_e32 v6, v76                                      // 00000000F0E8: 7E0C034C
	s_mov_b64 s[60:61], 0                                      // 00000000F0EC: BEBC0180
	v_readlane_b32 s82, v3, 12                                 // 00000000F0F0: D2890052 00011903
	s_and_b32 s82, s82, 0xffffff                               // 00000000F0F8: 8652FF52 00FFFFFF
	s_cmp_lt_u32 s82, s66                                      // 00000000F100: BF0A4252
	s_cselect_b32 s20, s36, s60                                // 00000000F104: 85143C24
	v_readlane_b32 s82, v3, 13                                 // 00000000F108: D2890052 00011B03
	s_and_b32 s82, s82, 0xffffff                               // 00000000F110: 8652FF52 00FFFFFF
	s_cmp_lt_u32 s82, s66                                      // 00000000F118: BF0A4252
	s_cselect_b32 s21, s36, s60                                // 00000000F11C: 85153C24
	s_mov_b64 exec, s[20:21]                                   // 00000000F120: BEFE0114
	global_atomic_add_f32 v6, v144, s[8:9]                     // 00000000F124: DD348000 00089006
	s_mov_b64 exec, s[36:37]                                   // 00000000F12C: BEFE0124
	v_mov_b32_e32 v6, v77                                      // 00000000F130: 7E0C034D
	s_mov_b64 s[60:61], 0                                      // 00000000F134: BEBC0180
	v_readlane_b32 s82, v3, 14                                 // 00000000F138: D2890052 00011D03
	s_and_b32 s82, s82, 0xffffff                               // 00000000F140: 8652FF52 00FFFFFF
	s_cmp_lt_u32 s82, s66                                      // 00000000F148: BF0A4252
	s_cselect_b32 s20, s36, s60                                // 00000000F14C: 85143C24
	v_readlane_b32 s82, v3, 15                                 // 00000000F150: D2890052 00011F03
	s_and_b32 s82, s82, 0xffffff                               // 00000000F158: 8652FF52 00FFFFFF
	s_cmp_lt_u32 s82, s66                                      // 00000000F160: BF0A4252
	s_cselect_b32 s21, s36, s60                                // 00000000F164: 85153C24
	s_mov_b64 exec, s[20:21]                                   // 00000000F168: BEFE0114
	global_atomic_add_f32 v6, v145, s[8:9]                     // 00000000F16C: DD348000 00089106
	s_mov_b64 exec, s[36:37]                                   // 00000000F174: BEFE0124
	v_mov_b32_e32 v6, v78                                      // 00000000F178: 7E0C034E
	s_mov_b64 s[60:61], 0                                      // 00000000F17C: BEBC0180
	v_readlane_b32 s82, v3, 16                                 // 00000000F180: D2890052 00012103
	s_and_b32 s82, s82, 0xffffff                               // 00000000F188: 8652FF52 00FFFFFF
	s_cmp_lt_u32 s82, s66                                      // 00000000F190: BF0A4252
	s_cselect_b32 s20, s36, s60                                // 00000000F194: 85143C24
	v_readlane_b32 s82, v3, 17                                 // 00000000F198: D2890052 00012303
	s_and_b32 s82, s82, 0xffffff                               // 00000000F1A0: 8652FF52 00FFFFFF
	s_cmp_lt_u32 s82, s66                                      // 00000000F1A8: BF0A4252
	s_cselect_b32 s21, s36, s60                                // 00000000F1AC: 85153C24
	s_mov_b64 exec, s[20:21]                                   // 00000000F1B0: BEFE0114
	global_atomic_add_f32 v6, v148, s[8:9]                     // 00000000F1B4: DD348000 00089406
	s_mov_b64 exec, s[36:37]                                   // 00000000F1BC: BEFE0124
	v_mov_b32_e32 v6, v79                                      // 00000000F1C0: 7E0C034F
	s_mov_b64 s[60:61], 0                                      // 00000000F1C4: BEBC0180
	v_readlane_b32 s82, v3, 18                                 // 00000000F1C8: D2890052 00012503
	s_and_b32 s82, s82, 0xffffff                               // 00000000F1D0: 8652FF52 00FFFFFF
	s_cmp_lt_u32 s82, s66                                      // 00000000F1D8: BF0A4252
	s_cselect_b32 s20, s36, s60                                // 00000000F1DC: 85143C24
	v_readlane_b32 s82, v3, 19                                 // 00000000F1E0: D2890052 00012703
	s_and_b32 s82, s82, 0xffffff                               // 00000000F1E8: 8652FF52 00FFFFFF
	s_cmp_lt_u32 s82, s66                                      // 00000000F1F0: BF0A4252
	s_cselect_b32 s21, s36, s60                                // 00000000F1F4: 85153C24
	s_mov_b64 exec, s[20:21]                                   // 00000000F1F8: BEFE0114
	global_atomic_add_f32 v6, v149, s[8:9]                     // 00000000F1FC: DD348000 00089506
	s_mov_b64 exec, s[36:37]                                   // 00000000F204: BEFE0124
	v_mov_b32_e32 v6, v80                                      // 00000000F208: 7E0C0350
	s_mov_b64 s[60:61], 0                                      // 00000000F20C: BEBC0180
	v_readlane_b32 s82, v3, 20                                 // 00000000F210: D2890052 00012903
	s_and_b32 s82, s82, 0xffffff                               // 00000000F218: 8652FF52 00FFFFFF
	s_cmp_lt_u32 s82, s66                                      // 00000000F220: BF0A4252
	s_cselect_b32 s20, s36, s60                                // 00000000F224: 85143C24
	v_readlane_b32 s82, v3, 21                                 // 00000000F228: D2890052 00012B03
	s_and_b32 s82, s82, 0xffffff                               // 00000000F230: 8652FF52 00FFFFFF
	s_cmp_lt_u32 s82, s66                                      // 00000000F238: BF0A4252
	s_cselect_b32 s21, s36, s60                                // 00000000F23C: 85153C24
	s_mov_b64 exec, s[20:21]                                   // 00000000F240: BEFE0114
	global_atomic_add_f32 v6, v152, s[8:9]                     // 00000000F244: DD348000 00089806
	s_mov_b64 exec, s[36:37]                                   // 00000000F24C: BEFE0124
	v_mov_b32_e32 v6, v81                                      // 00000000F250: 7E0C0351
	s_mov_b64 s[60:61], 0                                      // 00000000F254: BEBC0180
	v_readlane_b32 s82, v3, 22                                 // 00000000F258: D2890052 00012D03
	s_and_b32 s82, s82, 0xffffff                               // 00000000F260: 8652FF52 00FFFFFF
	s_cmp_lt_u32 s82, s66                                      // 00000000F268: BF0A4252
	s_cselect_b32 s20, s36, s60                                // 00000000F26C: 85143C24
	v_readlane_b32 s82, v3, 23                                 // 00000000F270: D2890052 00012F03
	s_and_b32 s82, s82, 0xffffff                               // 00000000F278: 8652FF52 00FFFFFF
	s_cmp_lt_u32 s82, s66                                      // 00000000F280: BF0A4252
	s_cselect_b32 s21, s36, s60                                // 00000000F284: 85153C24
	s_mov_b64 exec, s[20:21]                                   // 00000000F288: BEFE0114
	global_atomic_add_f32 v6, v153, s[8:9]                     // 00000000F28C: DD348000 00089906
	s_mov_b64 exec, s[36:37]                                   // 00000000F294: BEFE0124
	v_mov_b32_e32 v6, v82                                      // 00000000F298: 7E0C0352
	s_mov_b64 s[60:61], 0                                      // 00000000F29C: BEBC0180
	v_readlane_b32 s82, v3, 24                                 // 00000000F2A0: D2890052 00013103
	s_and_b32 s82, s82, 0xffffff                               // 00000000F2A8: 8652FF52 00FFFFFF
	s_cmp_lt_u32 s82, s66                                      // 00000000F2B0: BF0A4252
	s_cselect_b32 s20, s36, s60                                // 00000000F2B4: 85143C24
	v_readlane_b32 s82, v3, 25                                 // 00000000F2B8: D2890052 00013303
	s_and_b32 s82, s82, 0xffffff                               // 00000000F2C0: 8652FF52 00FFFFFF
	s_cmp_lt_u32 s82, s66                                      // 00000000F2C8: BF0A4252
	s_cselect_b32 s21, s36, s60                                // 00000000F2CC: 85153C24
	s_mov_b64 exec, s[20:21]                                   // 00000000F2D0: BEFE0114
	global_atomic_add_f32 v6, v156, s[8:9]                     // 00000000F2D4: DD348000 00089C06
	s_mov_b64 exec, s[36:37]                                   // 00000000F2DC: BEFE0124
	v_mov_b32_e32 v6, v83                                      // 00000000F2E0: 7E0C0353
	s_mov_b64 s[60:61], 0                                      // 00000000F2E4: BEBC0180
	v_readlane_b32 s82, v3, 26                                 // 00000000F2E8: D2890052 00013503
	s_and_b32 s82, s82, 0xffffff                               // 00000000F2F0: 8652FF52 00FFFFFF
	s_cmp_lt_u32 s82, s66                                      // 00000000F2F8: BF0A4252
	s_cselect_b32 s20, s36, s60                                // 00000000F2FC: 85143C24
	v_readlane_b32 s82, v3, 27                                 // 00000000F300: D2890052 00013703
	s_and_b32 s82, s82, 0xffffff                               // 00000000F308: 8652FF52 00FFFFFF
	s_cmp_lt_u32 s82, s66                                      // 00000000F310: BF0A4252
	s_cselect_b32 s21, s36, s60                                // 00000000F314: 85153C24
	s_mov_b64 exec, s[20:21]                                   // 00000000F318: BEFE0114
	global_atomic_add_f32 v6, v157, s[8:9]                     // 00000000F31C: DD348000 00089D06
	s_mov_b64 exec, s[36:37]                                   // 00000000F324: BEFE0124
	v_mov_b32_e32 v6, v84                                      // 00000000F328: 7E0C0354
	s_mov_b64 s[60:61], 0                                      // 00000000F32C: BEBC0180
	v_readlane_b32 s82, v3, 28                                 // 00000000F330: D2890052 00013903
	s_and_b32 s82, s82, 0xffffff                               // 00000000F338: 8652FF52 00FFFFFF
	s_cmp_lt_u32 s82, s66                                      // 00000000F340: BF0A4252
	s_cselect_b32 s20, s36, s60                                // 00000000F344: 85143C24
	v_readlane_b32 s82, v3, 29                                 // 00000000F348: D2890052 00013B03
	s_and_b32 s82, s82, 0xffffff                               // 00000000F350: 8652FF52 00FFFFFF
	s_cmp_lt_u32 s82, s66                                      // 00000000F358: BF0A4252
	s_cselect_b32 s21, s36, s60                                // 00000000F35C: 85153C24
	s_mov_b64 exec, s[20:21]                                   // 00000000F360: BEFE0114
	global_atomic_add_f32 v6, v160, s[8:9]                     // 00000000F364: DD348000 0008A006
	s_mov_b64 exec, s[36:37]                                   // 00000000F36C: BEFE0124
	v_mov_b32_e32 v6, v85                                      // 00000000F370: 7E0C0355
	s_mov_b64 s[60:61], 0                                      // 00000000F374: BEBC0180
	v_readlane_b32 s82, v3, 30                                 // 00000000F378: D2890052 00013D03
	s_and_b32 s82, s82, 0xffffff                               // 00000000F380: 8652FF52 00FFFFFF
	s_cmp_lt_u32 s82, s66                                      // 00000000F388: BF0A4252
	s_cselect_b32 s20, s36, s60                                // 00000000F38C: 85143C24
	v_readlane_b32 s82, v3, 31                                 // 00000000F390: D2890052 00013F03
	s_and_b32 s82, s82, 0xffffff                               // 00000000F398: 8652FF52 00FFFFFF
	s_cmp_lt_u32 s82, s66                                      // 00000000F3A0: BF0A4252
	s_cselect_b32 s21, s36, s60                                // 00000000F3A4: 85153C24
	s_mov_b64 exec, s[20:21]                                   // 00000000F3A8: BEFE0114
	global_atomic_add_f32 v6, v161, s[8:9]                     // 00000000F3AC: DD348000 0008A106
	s_mov_b64 exec, s[36:37]                                   // 00000000F3B4: BEFE0124
	v_mov_b32_e32 v6, v86                                      // 00000000F3B8: 7E0C0356
	s_mov_b64 s[60:61], 0                                      // 00000000F3BC: BEBC0180
	v_readlane_b32 s82, v3, 32                                 // 00000000F3C0: D2890052 00014103
	s_and_b32 s82, s82, 0xffffff                               // 00000000F3C8: 8652FF52 00FFFFFF
	s_cmp_lt_u32 s82, s66                                      // 00000000F3D0: BF0A4252
	s_cselect_b32 s20, s36, s60                                // 00000000F3D4: 85143C24
	v_readlane_b32 s82, v3, 33                                 // 00000000F3D8: D2890052 00014303
	s_and_b32 s82, s82, 0xffffff                               // 00000000F3E0: 8652FF52 00FFFFFF
	s_cmp_lt_u32 s82, s66                                      // 00000000F3E8: BF0A4252
	s_cselect_b32 s21, s36, s60                                // 00000000F3EC: 85153C24
	s_mov_b64 exec, s[20:21]                                   // 00000000F3F0: BEFE0114
	global_atomic_add_f32 v6, v164, s[8:9]                     // 00000000F3F4: DD348000 0008A406
	s_mov_b64 exec, s[36:37]                                   // 00000000F3FC: BEFE0124
	v_mov_b32_e32 v6, v87                                      // 00000000F400: 7E0C0357
	s_mov_b64 s[60:61], 0                                      // 00000000F404: BEBC0180
	v_readlane_b32 s82, v3, 34                                 // 00000000F408: D2890052 00014503
	s_and_b32 s82, s82, 0xffffff                               // 00000000F410: 8652FF52 00FFFFFF
	s_cmp_lt_u32 s82, s66                                      // 00000000F418: BF0A4252
	s_cselect_b32 s20, s36, s60                                // 00000000F41C: 85143C24
	v_readlane_b32 s82, v3, 35                                 // 00000000F420: D2890052 00014703
	s_and_b32 s82, s82, 0xffffff                               // 00000000F428: 8652FF52 00FFFFFF
	s_cmp_lt_u32 s82, s66                                      // 00000000F430: BF0A4252
	s_cselect_b32 s21, s36, s60                                // 00000000F434: 85153C24
	s_mov_b64 exec, s[20:21]                                   // 00000000F438: BEFE0114
	global_atomic_add_f32 v6, v165, s[8:9]                     // 00000000F43C: DD348000 0008A506
	s_mov_b64 exec, s[36:37]                                   // 00000000F444: BEFE0124
	v_mov_b32_e32 v6, v88                                      // 00000000F448: 7E0C0358
	s_mov_b64 s[60:61], 0                                      // 00000000F44C: BEBC0180
	v_readlane_b32 s82, v3, 36                                 // 00000000F450: D2890052 00014903
	s_and_b32 s82, s82, 0xffffff                               // 00000000F458: 8652FF52 00FFFFFF
	s_cmp_lt_u32 s82, s66                                      // 00000000F460: BF0A4252
	s_cselect_b32 s20, s36, s60                                // 00000000F464: 85143C24
	v_readlane_b32 s82, v3, 37                                 // 00000000F468: D2890052 00014B03
	s_and_b32 s82, s82, 0xffffff                               // 00000000F470: 8652FF52 00FFFFFF
	s_cmp_lt_u32 s82, s66                                      // 00000000F478: BF0A4252
	s_cselect_b32 s21, s36, s60                                // 00000000F47C: 85153C24
	s_mov_b64 exec, s[20:21]                                   // 00000000F480: BEFE0114
	global_atomic_add_f32 v6, v168, s[8:9]                     // 00000000F484: DD348000 0008A806
	s_mov_b64 exec, s[36:37]                                   // 00000000F48C: BEFE0124
	v_mov_b32_e32 v6, v89                                      // 00000000F490: 7E0C0359
	s_mov_b64 s[60:61], 0                                      // 00000000F494: BEBC0180
	v_readlane_b32 s82, v3, 38                                 // 00000000F498: D2890052 00014D03
	s_and_b32 s82, s82, 0xffffff                               // 00000000F4A0: 8652FF52 00FFFFFF
	s_cmp_lt_u32 s82, s66                                      // 00000000F4A8: BF0A4252
	s_cselect_b32 s20, s36, s60                                // 00000000F4AC: 85143C24
	v_readlane_b32 s82, v3, 39                                 // 00000000F4B0: D2890052 00014F03
	s_and_b32 s82, s82, 0xffffff                               // 00000000F4B8: 8652FF52 00FFFFFF
	s_cmp_lt_u32 s82, s66                                      // 00000000F4C0: BF0A4252
	s_cselect_b32 s21, s36, s60                                // 00000000F4C4: 85153C24
	s_mov_b64 exec, s[20:21]                                   // 00000000F4C8: BEFE0114
	global_atomic_add_f32 v6, v169, s[8:9]                     // 00000000F4CC: DD348000 0008A906
	s_mov_b64 exec, s[36:37]                                   // 00000000F4D4: BEFE0124
	ds_write_b64 v20, v[134:135]                               // 00000000F4D8: D89A0000 00008614
	ds_write_b64 v20, v[138:139] offset:2176                   // 00000000F4E0: D89A0880 00008A14
	ds_write_b64 v20, v[142:143] offset:4352                   // 00000000F4E8: D89A1100 00008E14
	ds_write_b64 v20, v[146:147] offset:6528                   // 00000000F4F0: D89A1980 00009214
	ds_write_b64 v20, v[150:151] offset:8704                   // 00000000F4F8: D89A2200 00009614
	ds_write_b64 v20, v[154:155] offset:10880                  // 00000000F500: D89A2A80 00009A14
	ds_write_b64 v20, v[158:159] offset:13056                  // 00000000F508: D89A3300 00009E14
	ds_write_b64 v20, v[162:163] offset:15232                  // 00000000F510: D89A3B80 0000A214
	ds_write_b64 v20, v[166:167] offset:17408                  // 00000000F518: D89A4400 0000A614
	ds_write_b64 v20, v[170:171] offset:19584                  // 00000000F520: D89A4C80 0000AA14
	s_waitcnt lgkmcnt(0)                                       // 00000000F528: BF8CC07F
	s_barrier                                                  // 00000000F52C: BF8A0000
	ds_read_b32 v134, v21                                      // 00000000F530: D86C0000 86000015
	ds_read_b32 v135, v21 offset:64                            // 00000000F538: D86C0040 87000015
	ds_read_b32 v138, v21 offset:2176                          // 00000000F540: D86C0880 8A000015
	ds_read_b32 v139, v21 offset:2240                          // 00000000F548: D86C08C0 8B000015
	ds_read_b32 v142, v21 offset:4352                          // 00000000F550: D86C1100 8E000015
	ds_read_b32 v143, v21 offset:4416                          // 00000000F558: D86C1140 8F000015
	ds_read_b32 v146, v21 offset:6528                          // 00000000F560: D86C1980 92000015
	ds_read_b32 v147, v21 offset:6592                          // 00000000F568: D86C19C0 93000015
	ds_read_b32 v150, v21 offset:8704                          // 00000000F570: D86C2200 96000015
	ds_read_b32 v151, v21 offset:8768                          // 00000000F578: D86C2240 97000015
	ds_read_b32 v154, v21 offset:10880                         // 00000000F580: D86C2A80 9A000015
	ds_read_b32 v155, v21 offset:10944                         // 00000000F588: D86C2AC0 9B000015
	ds_read_b32 v158, v21 offset:13056                         // 00000000F590: D86C3300 9E000015
	ds_read_b32 v159, v21 offset:13120                         // 00000000F598: D86C3340 9F000015
	ds_read_b32 v162, v21 offset:15232                         // 00000000F5A0: D86C3B80 A2000015
	ds_read_b32 v163, v21 offset:15296                         // 00000000F5A8: D86C3BC0 A3000015
	ds_read_b32 v166, v21 offset:17408                         // 00000000F5B0: D86C4400 A6000015
	ds_read_b32 v167, v21 offset:17472                         // 00000000F5B8: D86C4440 A7000015
	ds_read_b32 v170, v21 offset:19584                         // 00000000F5C0: D86C4C80 AA000015
	ds_read_b32 v171, v21 offset:19648                         // 00000000F5C8: D86C4CC0 AB000015
	s_waitcnt lgkmcnt(0)                                       // 00000000F5D0: BF8CC07F
	v_mov_b32_e32 v7, 0                                        // 00000000F5D4: 7E0E0280
	s_mov_b64 exec, s[36:37]                                   // 00000000F5D8: BEFE0124
	v_mov_b32_e32 v6, v70                                      // 00000000F5DC: 7E0C0346
	s_mov_b64 s[60:61], 0                                      // 00000000F5E0: BEBC0180
	v_readlane_b32 s82, v3, 0                                  // 00000000F5E4: D2890052 00010103
	s_and_b32 s82, s82, 0xffffff                               // 00000000F5EC: 8652FF52 00FFFFFF
	s_cmp_lt_u32 s82, s66                                      // 00000000F5F4: BF0A4252
	s_cselect_b32 s20, s36, s60                                // 00000000F5F8: 85143C24
	v_readlane_b32 s82, v3, 1                                  // 00000000F5FC: D2890052 00010303
	s_and_b32 s82, s82, 0xffffff                               // 00000000F604: 8652FF52 00FFFFFF
	s_cmp_lt_u32 s82, s66                                      // 00000000F60C: BF0A4252
	s_cselect_b32 s21, s36, s60                                // 00000000F610: 85153C24
	s_mov_b64 exec, s[20:21]                                   // 00000000F614: BEFE0114
	global_atomic_add_f32 v6, v134, s[8:9] offset:8            // 00000000F618: DD348008 00088606
	s_mov_b64 exec, s[36:37]                                   // 00000000F620: BEFE0124
	v_mov_b32_e32 v6, v71                                      // 00000000F624: 7E0C0347
	s_mov_b64 s[60:61], 0                                      // 00000000F628: BEBC0180
	v_readlane_b32 s82, v3, 2                                  // 00000000F62C: D2890052 00010503
	s_and_b32 s82, s82, 0xffffff                               // 00000000F634: 8652FF52 00FFFFFF
	s_cmp_lt_u32 s82, s66                                      // 00000000F63C: BF0A4252
	s_cselect_b32 s20, s36, s60                                // 00000000F640: 85143C24
	v_readlane_b32 s82, v3, 3                                  // 00000000F644: D2890052 00010703
	s_and_b32 s82, s82, 0xffffff                               // 00000000F64C: 8652FF52 00FFFFFF
	s_cmp_lt_u32 s82, s66                                      // 00000000F654: BF0A4252
	s_cselect_b32 s21, s36, s60                                // 00000000F658: 85153C24
	s_mov_b64 exec, s[20:21]                                   // 00000000F65C: BEFE0114
	global_atomic_add_f32 v6, v135, s[8:9] offset:8            // 00000000F660: DD348008 00088706
	s_mov_b64 exec, s[36:37]                                   // 00000000F668: BEFE0124
	v_mov_b32_e32 v6, v72                                      // 00000000F66C: 7E0C0348
	s_mov_b64 s[60:61], 0                                      // 00000000F670: BEBC0180
	v_readlane_b32 s82, v3, 4                                  // 00000000F674: D2890052 00010903
	s_and_b32 s82, s82, 0xffffff                               // 00000000F67C: 8652FF52 00FFFFFF
	s_cmp_lt_u32 s82, s66                                      // 00000000F684: BF0A4252
	s_cselect_b32 s20, s36, s60                                // 00000000F688: 85143C24
	v_readlane_b32 s82, v3, 5                                  // 00000000F68C: D2890052 00010B03
	s_and_b32 s82, s82, 0xffffff                               // 00000000F694: 8652FF52 00FFFFFF
	s_cmp_lt_u32 s82, s66                                      // 00000000F69C: BF0A4252
	s_cselect_b32 s21, s36, s60                                // 00000000F6A0: 85153C24
	s_mov_b64 exec, s[20:21]                                   // 00000000F6A4: BEFE0114
	global_atomic_add_f32 v6, v138, s[8:9] offset:8            // 00000000F6A8: DD348008 00088A06
	s_mov_b64 exec, s[36:37]                                   // 00000000F6B0: BEFE0124
	v_mov_b32_e32 v6, v73                                      // 00000000F6B4: 7E0C0349
	s_mov_b64 s[60:61], 0                                      // 00000000F6B8: BEBC0180
	v_readlane_b32 s82, v3, 6                                  // 00000000F6BC: D2890052 00010D03
	s_and_b32 s82, s82, 0xffffff                               // 00000000F6C4: 8652FF52 00FFFFFF
	s_cmp_lt_u32 s82, s66                                      // 00000000F6CC: BF0A4252
	s_cselect_b32 s20, s36, s60                                // 00000000F6D0: 85143C24
	v_readlane_b32 s82, v3, 7                                  // 00000000F6D4: D2890052 00010F03
	s_and_b32 s82, s82, 0xffffff                               // 00000000F6DC: 8652FF52 00FFFFFF
	s_cmp_lt_u32 s82, s66                                      // 00000000F6E4: BF0A4252
	s_cselect_b32 s21, s36, s60                                // 00000000F6E8: 85153C24
	s_mov_b64 exec, s[20:21]                                   // 00000000F6EC: BEFE0114
	global_atomic_add_f32 v6, v139, s[8:9] offset:8            // 00000000F6F0: DD348008 00088B06
	s_mov_b64 exec, s[36:37]                                   // 00000000F6F8: BEFE0124
	v_mov_b32_e32 v6, v74                                      // 00000000F6FC: 7E0C034A
	s_mov_b64 s[60:61], 0                                      // 00000000F700: BEBC0180
	v_readlane_b32 s82, v3, 8                                  // 00000000F704: D2890052 00011103
	s_and_b32 s82, s82, 0xffffff                               // 00000000F70C: 8652FF52 00FFFFFF
	s_cmp_lt_u32 s82, s66                                      // 00000000F714: BF0A4252
	s_cselect_b32 s20, s36, s60                                // 00000000F718: 85143C24
	v_readlane_b32 s82, v3, 9                                  // 00000000F71C: D2890052 00011303
	s_and_b32 s82, s82, 0xffffff                               // 00000000F724: 8652FF52 00FFFFFF
	s_cmp_lt_u32 s82, s66                                      // 00000000F72C: BF0A4252
	s_cselect_b32 s21, s36, s60                                // 00000000F730: 85153C24
	s_mov_b64 exec, s[20:21]                                   // 00000000F734: BEFE0114
	global_atomic_add_f32 v6, v142, s[8:9] offset:8            // 00000000F738: DD348008 00088E06
	s_mov_b64 exec, s[36:37]                                   // 00000000F740: BEFE0124
	v_mov_b32_e32 v6, v75                                      // 00000000F744: 7E0C034B
	s_mov_b64 s[60:61], 0                                      // 00000000F748: BEBC0180
	v_readlane_b32 s82, v3, 10                                 // 00000000F74C: D2890052 00011503
	s_and_b32 s82, s82, 0xffffff                               // 00000000F754: 8652FF52 00FFFFFF
	s_cmp_lt_u32 s82, s66                                      // 00000000F75C: BF0A4252
	s_cselect_b32 s20, s36, s60                                // 00000000F760: 85143C24
	v_readlane_b32 s82, v3, 11                                 // 00000000F764: D2890052 00011703
	s_and_b32 s82, s82, 0xffffff                               // 00000000F76C: 8652FF52 00FFFFFF
	s_cmp_lt_u32 s82, s66                                      // 00000000F774: BF0A4252
	s_cselect_b32 s21, s36, s60                                // 00000000F778: 85153C24
	s_mov_b64 exec, s[20:21]                                   // 00000000F77C: BEFE0114
	global_atomic_add_f32 v6, v143, s[8:9] offset:8            // 00000000F780: DD348008 00088F06
	s_mov_b64 exec, s[36:37]                                   // 00000000F788: BEFE0124
	v_mov_b32_e32 v6, v76                                      // 00000000F78C: 7E0C034C
	s_mov_b64 s[60:61], 0                                      // 00000000F790: BEBC0180
	v_readlane_b32 s82, v3, 12                                 // 00000000F794: D2890052 00011903
	s_and_b32 s82, s82, 0xffffff                               // 00000000F79C: 8652FF52 00FFFFFF
	s_cmp_lt_u32 s82, s66                                      // 00000000F7A4: BF0A4252
	s_cselect_b32 s20, s36, s60                                // 00000000F7A8: 85143C24
	v_readlane_b32 s82, v3, 13                                 // 00000000F7AC: D2890052 00011B03
	s_and_b32 s82, s82, 0xffffff                               // 00000000F7B4: 8652FF52 00FFFFFF
	s_cmp_lt_u32 s82, s66                                      // 00000000F7BC: BF0A4252
	s_cselect_b32 s21, s36, s60                                // 00000000F7C0: 85153C24
	s_mov_b64 exec, s[20:21]                                   // 00000000F7C4: BEFE0114
	global_atomic_add_f32 v6, v146, s[8:9] offset:8            // 00000000F7C8: DD348008 00089206
	s_mov_b64 exec, s[36:37]                                   // 00000000F7D0: BEFE0124
	v_mov_b32_e32 v6, v77                                      // 00000000F7D4: 7E0C034D
	s_mov_b64 s[60:61], 0                                      // 00000000F7D8: BEBC0180
	v_readlane_b32 s82, v3, 14                                 // 00000000F7DC: D2890052 00011D03
	s_and_b32 s82, s82, 0xffffff                               // 00000000F7E4: 8652FF52 00FFFFFF
	s_cmp_lt_u32 s82, s66                                      // 00000000F7EC: BF0A4252
	s_cselect_b32 s20, s36, s60                                // 00000000F7F0: 85143C24
	v_readlane_b32 s82, v3, 15                                 // 00000000F7F4: D2890052 00011F03
	s_and_b32 s82, s82, 0xffffff                               // 00000000F7FC: 8652FF52 00FFFFFF
	s_cmp_lt_u32 s82, s66                                      // 00000000F804: BF0A4252
	s_cselect_b32 s21, s36, s60                                // 00000000F808: 85153C24
	s_mov_b64 exec, s[20:21]                                   // 00000000F80C: BEFE0114
	global_atomic_add_f32 v6, v147, s[8:9] offset:8            // 00000000F810: DD348008 00089306
	s_mov_b64 exec, s[36:37]                                   // 00000000F818: BEFE0124
	v_mov_b32_e32 v6, v78                                      // 00000000F81C: 7E0C034E
	s_mov_b64 s[60:61], 0                                      // 00000000F820: BEBC0180
	v_readlane_b32 s82, v3, 16                                 // 00000000F824: D2890052 00012103
	s_and_b32 s82, s82, 0xffffff                               // 00000000F82C: 8652FF52 00FFFFFF
	s_cmp_lt_u32 s82, s66                                      // 00000000F834: BF0A4252
	s_cselect_b32 s20, s36, s60                                // 00000000F838: 85143C24
	v_readlane_b32 s82, v3, 17                                 // 00000000F83C: D2890052 00012303
	s_and_b32 s82, s82, 0xffffff                               // 00000000F844: 8652FF52 00FFFFFF
	s_cmp_lt_u32 s82, s66                                      // 00000000F84C: BF0A4252
	s_cselect_b32 s21, s36, s60                                // 00000000F850: 85153C24
	s_mov_b64 exec, s[20:21]                                   // 00000000F854: BEFE0114
	global_atomic_add_f32 v6, v150, s[8:9] offset:8            // 00000000F858: DD348008 00089606
	s_mov_b64 exec, s[36:37]                                   // 00000000F860: BEFE0124
	v_mov_b32_e32 v6, v79                                      // 00000000F864: 7E0C034F
	s_mov_b64 s[60:61], 0                                      // 00000000F868: BEBC0180
	v_readlane_b32 s82, v3, 18                                 // 00000000F86C: D2890052 00012503
	s_and_b32 s82, s82, 0xffffff                               // 00000000F874: 8652FF52 00FFFFFF
	s_cmp_lt_u32 s82, s66                                      // 00000000F87C: BF0A4252
	s_cselect_b32 s20, s36, s60                                // 00000000F880: 85143C24
	v_readlane_b32 s82, v3, 19                                 // 00000000F884: D2890052 00012703
	s_and_b32 s82, s82, 0xffffff                               // 00000000F88C: 8652FF52 00FFFFFF
	s_cmp_lt_u32 s82, s66                                      // 00000000F894: BF0A4252
	s_cselect_b32 s21, s36, s60                                // 00000000F898: 85153C24
	s_mov_b64 exec, s[20:21]                                   // 00000000F89C: BEFE0114
	global_atomic_add_f32 v6, v151, s[8:9] offset:8            // 00000000F8A0: DD348008 00089706
	s_mov_b64 exec, s[36:37]                                   // 00000000F8A8: BEFE0124
	v_mov_b32_e32 v6, v80                                      // 00000000F8AC: 7E0C0350
	s_mov_b64 s[60:61], 0                                      // 00000000F8B0: BEBC0180
	v_readlane_b32 s82, v3, 20                                 // 00000000F8B4: D2890052 00012903
	s_and_b32 s82, s82, 0xffffff                               // 00000000F8BC: 8652FF52 00FFFFFF
	s_cmp_lt_u32 s82, s66                                      // 00000000F8C4: BF0A4252
	s_cselect_b32 s20, s36, s60                                // 00000000F8C8: 85143C24
	v_readlane_b32 s82, v3, 21                                 // 00000000F8CC: D2890052 00012B03
	s_and_b32 s82, s82, 0xffffff                               // 00000000F8D4: 8652FF52 00FFFFFF
	s_cmp_lt_u32 s82, s66                                      // 00000000F8DC: BF0A4252
	s_cselect_b32 s21, s36, s60                                // 00000000F8E0: 85153C24
	s_mov_b64 exec, s[20:21]                                   // 00000000F8E4: BEFE0114
	global_atomic_add_f32 v6, v154, s[8:9] offset:8            // 00000000F8E8: DD348008 00089A06
	s_mov_b64 exec, s[36:37]                                   // 00000000F8F0: BEFE0124
	v_mov_b32_e32 v6, v81                                      // 00000000F8F4: 7E0C0351
	s_mov_b64 s[60:61], 0                                      // 00000000F8F8: BEBC0180
	v_readlane_b32 s82, v3, 22                                 // 00000000F8FC: D2890052 00012D03
	s_and_b32 s82, s82, 0xffffff                               // 00000000F904: 8652FF52 00FFFFFF
	s_cmp_lt_u32 s82, s66                                      // 00000000F90C: BF0A4252
	s_cselect_b32 s20, s36, s60                                // 00000000F910: 85143C24
	v_readlane_b32 s82, v3, 23                                 // 00000000F914: D2890052 00012F03
	s_and_b32 s82, s82, 0xffffff                               // 00000000F91C: 8652FF52 00FFFFFF
	s_cmp_lt_u32 s82, s66                                      // 00000000F924: BF0A4252
	s_cselect_b32 s21, s36, s60                                // 00000000F928: 85153C24
	s_mov_b64 exec, s[20:21]                                   // 00000000F92C: BEFE0114
	global_atomic_add_f32 v6, v155, s[8:9] offset:8            // 00000000F930: DD348008 00089B06
	s_mov_b64 exec, s[36:37]                                   // 00000000F938: BEFE0124
	v_mov_b32_e32 v6, v82                                      // 00000000F93C: 7E0C0352
	s_mov_b64 s[60:61], 0                                      // 00000000F940: BEBC0180
	v_readlane_b32 s82, v3, 24                                 // 00000000F944: D2890052 00013103
	s_and_b32 s82, s82, 0xffffff                               // 00000000F94C: 8652FF52 00FFFFFF
	s_cmp_lt_u32 s82, s66                                      // 00000000F954: BF0A4252
	s_cselect_b32 s20, s36, s60                                // 00000000F958: 85143C24
	v_readlane_b32 s82, v3, 25                                 // 00000000F95C: D2890052 00013303
	s_and_b32 s82, s82, 0xffffff                               // 00000000F964: 8652FF52 00FFFFFF
	s_cmp_lt_u32 s82, s66                                      // 00000000F96C: BF0A4252
	s_cselect_b32 s21, s36, s60                                // 00000000F970: 85153C24
	s_mov_b64 exec, s[20:21]                                   // 00000000F974: BEFE0114
	global_atomic_add_f32 v6, v158, s[8:9] offset:8            // 00000000F978: DD348008 00089E06
	s_mov_b64 exec, s[36:37]                                   // 00000000F980: BEFE0124
	v_mov_b32_e32 v6, v83                                      // 00000000F984: 7E0C0353
	s_mov_b64 s[60:61], 0                                      // 00000000F988: BEBC0180
	v_readlane_b32 s82, v3, 26                                 // 00000000F98C: D2890052 00013503
	s_and_b32 s82, s82, 0xffffff                               // 00000000F994: 8652FF52 00FFFFFF
	s_cmp_lt_u32 s82, s66                                      // 00000000F99C: BF0A4252
	s_cselect_b32 s20, s36, s60                                // 00000000F9A0: 85143C24
	v_readlane_b32 s82, v3, 27                                 // 00000000F9A4: D2890052 00013703
	s_and_b32 s82, s82, 0xffffff                               // 00000000F9AC: 8652FF52 00FFFFFF
	s_cmp_lt_u32 s82, s66                                      // 00000000F9B4: BF0A4252
	s_cselect_b32 s21, s36, s60                                // 00000000F9B8: 85153C24
	s_mov_b64 exec, s[20:21]                                   // 00000000F9BC: BEFE0114
	global_atomic_add_f32 v6, v159, s[8:9] offset:8            // 00000000F9C0: DD348008 00089F06
	s_mov_b64 exec, s[36:37]                                   // 00000000F9C8: BEFE0124
	v_mov_b32_e32 v6, v84                                      // 00000000F9CC: 7E0C0354
	s_mov_b64 s[60:61], 0                                      // 00000000F9D0: BEBC0180
	v_readlane_b32 s82, v3, 28                                 // 00000000F9D4: D2890052 00013903
	s_and_b32 s82, s82, 0xffffff                               // 00000000F9DC: 8652FF52 00FFFFFF
	s_cmp_lt_u32 s82, s66                                      // 00000000F9E4: BF0A4252
	s_cselect_b32 s20, s36, s60                                // 00000000F9E8: 85143C24
	v_readlane_b32 s82, v3, 29                                 // 00000000F9EC: D2890052 00013B03
	s_and_b32 s82, s82, 0xffffff                               // 00000000F9F4: 8652FF52 00FFFFFF
	s_cmp_lt_u32 s82, s66                                      // 00000000F9FC: BF0A4252
	s_cselect_b32 s21, s36, s60                                // 00000000FA00: 85153C24
	s_mov_b64 exec, s[20:21]                                   // 00000000FA04: BEFE0114
	global_atomic_add_f32 v6, v162, s[8:9] offset:8            // 00000000FA08: DD348008 0008A206
	s_mov_b64 exec, s[36:37]                                   // 00000000FA10: BEFE0124
	v_mov_b32_e32 v6, v85                                      // 00000000FA14: 7E0C0355
	s_mov_b64 s[60:61], 0                                      // 00000000FA18: BEBC0180
	v_readlane_b32 s82, v3, 30                                 // 00000000FA1C: D2890052 00013D03
	s_and_b32 s82, s82, 0xffffff                               // 00000000FA24: 8652FF52 00FFFFFF
	s_cmp_lt_u32 s82, s66                                      // 00000000FA2C: BF0A4252
	s_cselect_b32 s20, s36, s60                                // 00000000FA30: 85143C24
	v_readlane_b32 s82, v3, 31                                 // 00000000FA34: D2890052 00013F03
	s_and_b32 s82, s82, 0xffffff                               // 00000000FA3C: 8652FF52 00FFFFFF
	s_cmp_lt_u32 s82, s66                                      // 00000000FA44: BF0A4252
	s_cselect_b32 s21, s36, s60                                // 00000000FA48: 85153C24
	s_mov_b64 exec, s[20:21]                                   // 00000000FA4C: BEFE0114
	global_atomic_add_f32 v6, v163, s[8:9] offset:8            // 00000000FA50: DD348008 0008A306
	s_mov_b64 exec, s[36:37]                                   // 00000000FA58: BEFE0124
	v_mov_b32_e32 v6, v86                                      // 00000000FA5C: 7E0C0356
	s_mov_b64 s[60:61], 0                                      // 00000000FA60: BEBC0180
	v_readlane_b32 s82, v3, 32                                 // 00000000FA64: D2890052 00014103
	s_and_b32 s82, s82, 0xffffff                               // 00000000FA6C: 8652FF52 00FFFFFF
	s_cmp_lt_u32 s82, s66                                      // 00000000FA74: BF0A4252
	s_cselect_b32 s20, s36, s60                                // 00000000FA78: 85143C24
	v_readlane_b32 s82, v3, 33                                 // 00000000FA7C: D2890052 00014303
	s_and_b32 s82, s82, 0xffffff                               // 00000000FA84: 8652FF52 00FFFFFF
	s_cmp_lt_u32 s82, s66                                      // 00000000FA8C: BF0A4252
	s_cselect_b32 s21, s36, s60                                // 00000000FA90: 85153C24
	s_mov_b64 exec, s[20:21]                                   // 00000000FA94: BEFE0114
	global_atomic_add_f32 v6, v166, s[8:9] offset:8            // 00000000FA98: DD348008 0008A606
	s_mov_b64 exec, s[36:37]                                   // 00000000FAA0: BEFE0124
	v_mov_b32_e32 v6, v87                                      // 00000000FAA4: 7E0C0357
	s_mov_b64 s[60:61], 0                                      // 00000000FAA8: BEBC0180
	v_readlane_b32 s82, v3, 34                                 // 00000000FAAC: D2890052 00014503
	s_and_b32 s82, s82, 0xffffff                               // 00000000FAB4: 8652FF52 00FFFFFF
	s_cmp_lt_u32 s82, s66                                      // 00000000FABC: BF0A4252
	s_cselect_b32 s20, s36, s60                                // 00000000FAC0: 85143C24
	v_readlane_b32 s82, v3, 35                                 // 00000000FAC4: D2890052 00014703
	s_and_b32 s82, s82, 0xffffff                               // 00000000FACC: 8652FF52 00FFFFFF
	s_cmp_lt_u32 s82, s66                                      // 00000000FAD4: BF0A4252
	s_cselect_b32 s21, s36, s60                                // 00000000FAD8: 85153C24
	s_mov_b64 exec, s[20:21]                                   // 00000000FADC: BEFE0114
	global_atomic_add_f32 v6, v167, s[8:9] offset:8            // 00000000FAE0: DD348008 0008A706
	s_mov_b64 exec, s[36:37]                                   // 00000000FAE8: BEFE0124
	v_mov_b32_e32 v6, v88                                      // 00000000FAEC: 7E0C0358
	s_mov_b64 s[60:61], 0                                      // 00000000FAF0: BEBC0180
	v_readlane_b32 s82, v3, 36                                 // 00000000FAF4: D2890052 00014903
	s_and_b32 s82, s82, 0xffffff                               // 00000000FAFC: 8652FF52 00FFFFFF
	s_cmp_lt_u32 s82, s66                                      // 00000000FB04: BF0A4252
	s_cselect_b32 s20, s36, s60                                // 00000000FB08: 85143C24
	v_readlane_b32 s82, v3, 37                                 // 00000000FB0C: D2890052 00014B03
	s_and_b32 s82, s82, 0xffffff                               // 00000000FB14: 8652FF52 00FFFFFF
	s_cmp_lt_u32 s82, s66                                      // 00000000FB1C: BF0A4252
	s_cselect_b32 s21, s36, s60                                // 00000000FB20: 85153C24
	s_mov_b64 exec, s[20:21]                                   // 00000000FB24: BEFE0114
	global_atomic_add_f32 v6, v170, s[8:9] offset:8            // 00000000FB28: DD348008 0008AA06
	s_mov_b64 exec, s[36:37]                                   // 00000000FB30: BEFE0124
	v_mov_b32_e32 v6, v89                                      // 00000000FB34: 7E0C0359
	s_mov_b64 s[60:61], 0                                      // 00000000FB38: BEBC0180
	v_readlane_b32 s82, v3, 38                                 // 00000000FB3C: D2890052 00014D03
	s_and_b32 s82, s82, 0xffffff                               // 00000000FB44: 8652FF52 00FFFFFF
	s_cmp_lt_u32 s82, s66                                      // 00000000FB4C: BF0A4252
	s_cselect_b32 s20, s36, s60                                // 00000000FB50: 85143C24
	v_readlane_b32 s82, v3, 39                                 // 00000000FB54: D2890052 00014F03
	s_and_b32 s82, s82, 0xffffff                               // 00000000FB5C: 8652FF52 00FFFFFF
	s_cmp_lt_u32 s82, s66                                      // 00000000FB64: BF0A4252
	s_cselect_b32 s21, s36, s60                                // 00000000FB68: 85153C24
	s_mov_b64 exec, s[20:21]                                   // 00000000FB6C: BEFE0114
	global_atomic_add_f32 v6, v171, s[8:9] offset:8            // 00000000FB70: DD348008 0008AB06
	s_mov_b64 exec, s[36:37]                                   // 00000000FB78: BEFE0124
	s_branch label_3463                                        // 00000000FB7C: BF820000

000000000000fb80 <label_3463>:
	s_waitcnt vmcnt(0) expcnt(0) lgkmcnt(0)                    // 00000000FB80: BF8C0000
	s_endpgm                                                   // 00000000FB84: BF810000
